;; amdgpu-corpus repo=ROCm/rocFFT kind=compiled arch=gfx950 opt=O3
	.text
	.amdgcn_target "amdgcn-amd-amdhsa--gfx950"
	.amdhsa_code_object_version 6
	.protected	bluestein_single_back_len1536_dim1_dp_op_CI_CI ; -- Begin function bluestein_single_back_len1536_dim1_dp_op_CI_CI
	.globl	bluestein_single_back_len1536_dim1_dp_op_CI_CI
	.p2align	8
	.type	bluestein_single_back_len1536_dim1_dp_op_CI_CI,@function
bluestein_single_back_len1536_dim1_dp_op_CI_CI: ; @bluestein_single_back_len1536_dim1_dp_op_CI_CI
; %bb.0:
	s_load_dwordx4 s[8:11], s[0:1], 0x28
	s_mov_b32 s3, 0
	s_waitcnt lgkmcnt(0)
	v_mov_b32_e32 v2, s8
	v_mov_b32_e32 v3, s9
	v_cmp_lt_u64_e32 vcc, s[2:3], v[2:3]
	s_and_saveexec_b64 s[4:5], vcc
	s_cbranch_execz .LBB0_23
; %bb.1:
	s_load_dwordx2 s[8:9], s[0:1], 0x0
	s_load_dwordx2 s[12:13], s[0:1], 0x38
	v_mov_b64_e32 v[148:149], s[2:3]
	s_movk_i32 s2, 0x60
	v_mov_b32_e32 v147, 0
	v_cmp_gt_u32_e32 vcc, s2, v0
	v_lshlrev_b32_e32 v146, 4, v0
	s_and_saveexec_b64 s[14:15], vcc
	s_cbranch_execz .LBB0_3
; %bb.2:
	s_load_dwordx2 s[2:3], s[0:1], 0x18
	v_mov_b32_e32 v2, s10
	v_mov_b32_e32 v3, s11
	;; [unrolled: 1-line block ×3, first 2 shown]
	s_movk_i32 s10, 0x5000
	s_waitcnt lgkmcnt(0)
	s_load_dwordx4 s[4:7], s[2:3], 0x0
	v_or_b32_e32 v51, 0x180, v0
	v_lshlrev_b32_e32 v50, 4, v51
	v_mov_b32_e32 v110, 0xc00
	v_or_b32_e32 v78, 0x3000, v146
	s_waitcnt lgkmcnt(0)
	v_mad_u64_u32 v[4:5], s[2:3], s6, v148, 0
	v_mad_u64_u32 v[6:7], s[2:3], s4, v0, 0
	v_mov_b32_e32 v8, v5
	v_mov_b32_e32 v10, v7
	v_mad_u64_u32 v[8:9], s[2:3], s7, v148, v[8:9]
	v_mov_b32_e32 v5, v8
	v_mad_u64_u32 v[8:9], s[2:3], s5, v0, v[10:11]
	v_mov_b32_e32 v7, v8
	v_lshl_add_u64 v[26:27], v[4:5], 4, v[2:3]
	v_lshl_add_u64 v[10:11], v[6:7], 4, v[26:27]
	v_mad_u64_u32 v[28:29], s[2:3], s4, v1, v[10:11]
	s_mul_i32 s6, s5, 0x600
	v_add_u32_e32 v29, s6, v29
	v_mad_u64_u32 v[30:31], s[2:3], s4, v1, v[28:29]
	global_load_dwordx4 v[2:5], v[10:11], off
	global_load_dwordx4 v[6:9], v146, s[8:9]
	s_nop 0
	global_load_dwordx4 v[10:13], v146, s[8:9] offset:1536
	global_load_dwordx4 v[14:17], v146, s[8:9] offset:3072
	v_add_u32_e32 v31, s6, v31
	global_load_dwordx4 v[22:25], v[28:29], off
	global_load_dwordx4 v[18:21], v[30:31], off
	v_lshl_add_u64 v[28:29], s[8:9], 0, v[146:147]
	s_movk_i32 s2, 0x1000
	v_add_co_u32_e64 v48, s[2:3], s2, v28
	s_movk_i32 s7, 0x2000
	s_nop 0
	v_addc_co_u32_e64 v49, s[2:3], 0, v29, s[2:3]
	v_add_co_u32_e64 v76, s[2:3], s7, v28
	s_mul_i32 s7, s5, 0xc00
	s_nop 0
	v_addc_co_u32_e64 v77, s[2:3], 0, v29, s[2:3]
	v_add_co_u32_e64 v124, s[2:3], s10, v28
	global_load_dwordx4 v[32:35], v[48:49], off offset:512
	global_load_dwordx4 v[36:39], v[48:49], off offset:3584
	global_load_dwordx4 v[40:43], v50, s[8:9]
	global_load_dwordx4 v[44:47], v[76:77], off offset:1024
	v_addc_co_u32_e64 v125, s[2:3], 0, v29, s[2:3]
	v_mad_u64_u32 v[48:49], s[2:3], s4, v51, 0
	v_mov_b32_e32 v50, v49
	v_mad_u64_u32 v[30:31], s[2:3], s4, v1, v[30:31]
	v_mad_u64_u32 v[50:51], s[2:3], s5, v51, v[50:51]
	v_add_u32_e32 v31, s6, v31
	v_mov_b32_e32 v49, v50
	v_mad_u64_u32 v[60:61], s[2:3], s4, v110, v[30:31]
	v_lshl_add_u64 v[48:49], v[48:49], 4, v[26:27]
	v_add_u32_e32 v61, s7, v61
	global_load_dwordx4 v[48:51], v[48:49], off
	s_nop 0
	global_load_dwordx4 v[52:55], v[30:31], off
	global_load_dwordx4 v[56:59], v[60:61], off
	v_mad_u64_u32 v[30:31], s[2:3], s4, v1, v[60:61]
	v_add_u32_e32 v31, s6, v31
	global_load_dwordx4 v[60:63], v[30:31], off
	v_mad_u64_u32 v[30:31], s[2:3], s4, v1, v[30:31]
	v_add_u32_e32 v31, s6, v31
	;; [unrolled: 3-line block ×3, first 2 shown]
	global_load_dwordx4 v[68:71], v[76:77], off offset:2560
	global_load_dwordx4 v[72:75], v78, s[8:9]
	s_movk_i32 s10, 0x3000
	global_load_dwordx4 v[76:79], v[30:31], off
	v_mad_u64_u32 v[30:31], s[2:3], s4, v1, v[30:31]
	v_add_u32_e32 v31, s6, v31
	v_add_co_u32_e64 v96, s[2:3], s10, v28
	global_load_dwordx4 v[80:83], v[30:31], off
	s_nop 0
	v_addc_co_u32_e64 v97, s[2:3], 0, v29, s[2:3]
	v_mad_u64_u32 v[30:31], s[2:3], s4, v1, v[30:31]
	v_add_u32_e32 v31, s6, v31
	v_mad_u64_u32 v[108:109], s[2:3], s4, v1, v[30:31]
	s_movk_i32 s2, 0x4000
	s_nop 0
	v_add_co_u32_e64 v116, s[2:3], s2, v28
	v_or_b32_e32 v104, 0x480, v0
	s_nop 0
	v_addc_co_u32_e64 v117, s[2:3], 0, v29, s[2:3]
	v_mad_u64_u32 v[100:101], s[2:3], s4, v104, 0
	global_load_dwordx4 v[84:87], v[30:31], off
	global_load_dwordx4 v[88:91], v[96:97], off offset:1536
	global_load_dwordx4 v[92:95], v[96:97], off offset:3072
	v_mov_b32_e32 v28, v101
	v_mad_u64_u32 v[102:103], s[2:3], s5, v104, v[28:29]
	v_add_u32_e32 v109, s6, v109
	v_mov_b32_e32 v101, v102
	global_load_dwordx4 v[96:99], v[108:109], off
	global_load_dwordx4 v[28:31], v[116:117], off offset:512
	v_lshl_add_u64 v[26:27], v[100:101], 4, v[26:27]
	global_load_dwordx4 v[100:103], v[26:27], off
	v_lshlrev_b32_e32 v26, 4, v104
	global_load_dwordx4 v[104:107], v26, s[8:9]
	v_mad_u64_u32 v[26:27], s[2:3], s4, v110, v[108:109]
	v_add_u32_e32 v27, s7, v27
	global_load_dwordx4 v[108:111], v[26:27], off
	global_load_dwordx4 v[112:115], v[116:117], off offset:3584
	v_mad_u64_u32 v[26:27], s[2:3], s4, v1, v[26:27]
	v_add_u32_e32 v27, s6, v27
	global_load_dwordx4 v[116:119], v[26:27], off
	global_load_dwordx4 v[120:123], v[124:125], off offset:1024
	s_nop 0
	global_load_dwordx4 v[124:127], v[124:125], off offset:2560
	v_mad_u64_u32 v[26:27], s[2:3], s4, v1, v[26:27]
	v_add_u32_e32 v27, s6, v27
	global_load_dwordx4 v[128:131], v[26:27], off
	s_waitcnt vmcnt(30)
	v_mul_f64 v[132:133], v[4:5], v[8:9]
	v_mul_f64 v[8:9], v[2:3], v[8:9]
	v_fmac_f64_e32 v[132:133], v[2:3], v[6:7]
	v_fma_f64 v[134:135], v[4:5], v[6:7], -v[8:9]
	s_waitcnt vmcnt(27)
	v_mul_f64 v[2:3], v[24:25], v[12:13]
	v_mul_f64 v[4:5], v[22:23], v[12:13]
	v_fmac_f64_e32 v[2:3], v[22:23], v[10:11]
	v_fma_f64 v[4:5], v[24:25], v[10:11], -v[4:5]
	;; [unrolled: 5-line block ×3, first 2 shown]
	ds_write_b128 v146, v[132:135]
	ds_write_b128 v146, v[2:5] offset:1536
	ds_write_b128 v146, v[6:9] offset:3072
	s_waitcnt vmcnt(20)
	v_mul_f64 v[2:3], v[54:55], v[34:35]
	v_mul_f64 v[4:5], v[52:53], v[34:35]
	v_fmac_f64_e32 v[2:3], v[52:53], v[32:33]
	v_fma_f64 v[4:5], v[54:55], v[32:33], -v[4:5]
	ds_write_b128 v146, v[2:5] offset:4608
	s_waitcnt vmcnt(19)
	v_mul_f64 v[2:3], v[58:59], v[38:39]
	v_mul_f64 v[4:5], v[56:57], v[38:39]
	v_fmac_f64_e32 v[2:3], v[56:57], v[36:37]
	v_fma_f64 v[4:5], v[58:59], v[36:37], -v[4:5]
	v_mul_f64 v[10:11], v[50:51], v[42:43]
	v_mul_f64 v[12:13], v[48:49], v[42:43]
	ds_write_b128 v146, v[2:5] offset:7680
	s_waitcnt vmcnt(18)
	v_mul_f64 v[2:3], v[62:63], v[46:47]
	v_mul_f64 v[4:5], v[60:61], v[46:47]
	v_fmac_f64_e32 v[10:11], v[48:49], v[40:41]
	v_fma_f64 v[12:13], v[50:51], v[40:41], -v[12:13]
	v_fmac_f64_e32 v[2:3], v[60:61], v[44:45]
	v_fma_f64 v[4:5], v[62:63], v[44:45], -v[4:5]
	s_waitcnt vmcnt(16)
	v_mul_f64 v[6:7], v[66:67], v[70:71]
	v_mul_f64 v[8:9], v[64:65], v[70:71]
	ds_write_b128 v146, v[10:13] offset:6144
	v_fmac_f64_e32 v[6:7], v[64:65], v[68:69]
	v_fma_f64 v[8:9], v[66:67], v[68:69], -v[8:9]
	ds_write_b128 v146, v[2:5] offset:9216
	ds_write_b128 v146, v[6:9] offset:10752
	s_waitcnt vmcnt(14)
	v_mul_f64 v[2:3], v[78:79], v[74:75]
	v_mul_f64 v[4:5], v[76:77], v[74:75]
	v_fmac_f64_e32 v[2:3], v[76:77], v[72:73]
	v_fma_f64 v[4:5], v[78:79], v[72:73], -v[4:5]
	ds_write_b128 v146, v[2:5] offset:12288
	s_waitcnt vmcnt(11)
	v_mul_f64 v[2:3], v[82:83], v[90:91]
	v_mul_f64 v[4:5], v[80:81], v[90:91]
	v_fmac_f64_e32 v[2:3], v[80:81], v[88:89]
	v_fma_f64 v[4:5], v[82:83], v[88:89], -v[4:5]
	;; [unrolled: 6-line block ×8, first 2 shown]
	ds_write_b128 v146, v[2:5] offset:23040
.LBB0_3:
	s_or_b64 exec, exec, s[14:15]
	s_waitcnt lgkmcnt(0)
	s_barrier
	s_waitcnt lgkmcnt(0)
                                        ; implicit-def: $vgpr2_vgpr3
                                        ; implicit-def: $vgpr18_vgpr19
                                        ; implicit-def: $vgpr34_vgpr35
                                        ; implicit-def: $vgpr58_vgpr59
                                        ; implicit-def: $vgpr62_vgpr63
                                        ; implicit-def: $vgpr50_vgpr51
                                        ; implicit-def: $vgpr54_vgpr55
                                        ; implicit-def: $vgpr42_vgpr43
                                        ; implicit-def: $vgpr46_vgpr47
                                        ; implicit-def: $vgpr38_vgpr39
                                        ; implicit-def: $vgpr30_vgpr31
                                        ; implicit-def: $vgpr22_vgpr23
                                        ; implicit-def: $vgpr26_vgpr27
                                        ; implicit-def: $vgpr10_vgpr11
                                        ; implicit-def: $vgpr14_vgpr15
                                        ; implicit-def: $vgpr6_vgpr7
	s_and_saveexec_b64 s[2:3], vcc
	s_cbranch_execz .LBB0_5
; %bb.4:
	ds_read_b128 v[2:5], v146
	ds_read_b128 v[6:9], v146 offset:1536
	ds_read_b128 v[14:17], v146 offset:3072
	;; [unrolled: 1-line block ×15, first 2 shown]
.LBB0_5:
	s_or_b64 exec, exec, s[2:3]
	s_waitcnt lgkmcnt(7)
	v_add_f64 v[38:39], v[2:3], -v[38:39]
	v_add_f64 v[40:41], v[4:5], -v[40:41]
	s_waitcnt lgkmcnt(3)
	v_add_f64 v[54:55], v[26:27], -v[54:55]
	v_add_f64 v[56:57], v[28:29], -v[56:57]
	;; [unrolled: 1-line block ×4, first 2 shown]
	s_waitcnt lgkmcnt(1)
	v_add_f64 v[62:63], v[18:19], -v[62:63]
	v_add_f64 v[64:65], v[20:21], -v[64:65]
	;; [unrolled: 1-line block ×8, first 2 shown]
	s_waitcnt lgkmcnt(0)
	v_add_f64 v[58:59], v[30:31], -v[58:59]
	v_add_f64 v[60:61], v[32:33], -v[60:61]
	v_fma_f64 v[26:27], v[26:27], 2.0, -v[54:55]
	v_fma_f64 v[28:29], v[28:29], 2.0, -v[56:57]
	;; [unrolled: 1-line block ×8, first 2 shown]
	v_add_f64 v[56:57], v[38:39], -v[56:57]
	v_add_f64 v[54:55], v[40:41], v[54:55]
	v_add_f64 v[64:65], v[46:47], -v[64:65]
	v_add_f64 v[62:63], v[62:63], v[48:49]
	;; [unrolled: 2-line block ×4, first 2 shown]
	s_mov_b32 s4, 0x667f3bcd
	v_fma_f64 v[2:3], v[2:3], 2.0, -v[38:39]
	v_fma_f64 v[4:5], v[4:5], 2.0, -v[40:41]
	;; [unrolled: 1-line block ×16, first 2 shown]
	s_mov_b32 s5, 0xbfe6a09e
	v_fma_f64 v[90:91], s[4:5], v[46:47], v[38:39]
	v_fma_f64 v[92:93], s[4:5], v[48:49], v[40:41]
	s_mov_b32 s7, 0x3fe6a09e
	s_mov_b32 s6, s4
	v_fma_f64 v[98:99], s[4:5], v[42:43], v[34:35]
	v_fma_f64 v[100:101], s[4:5], v[44:45], v[36:37]
	v_add_f64 v[26:27], v[2:3], -v[26:27]
	v_add_f64 v[28:29], v[4:5], -v[28:29]
	;; [unrolled: 1-line block ×8, first 2 shown]
	v_fmac_f64_e32 v[90:91], s[4:5], v[48:49]
	v_fmac_f64_e32 v[92:93], s[6:7], v[46:47]
	v_fma_f64 v[46:47], s[6:7], v[64:65], v[56:57]
	v_fma_f64 v[48:49], s[6:7], v[62:63], v[54:55]
	v_fmac_f64_e32 v[98:99], s[4:5], v[44:45]
	v_fmac_f64_e32 v[100:101], s[6:7], v[42:43]
	v_fma_f64 v[42:43], s[6:7], v[60:61], v[52:53]
	v_fma_f64 v[44:45], s[6:7], v[58:59], v[50:51]
	s_load_dwordx2 s[2:3], s[0:1], 0x8
	v_fma_f64 v[2:3], v[2:3], 2.0, -v[26:27]
	v_fma_f64 v[4:5], v[4:5], 2.0, -v[28:29]
	;; [unrolled: 1-line block ×8, first 2 shown]
	v_add_f64 v[20:21], v[26:27], -v[20:21]
	v_add_f64 v[18:19], v[28:29], v[18:19]
	v_fmac_f64_e32 v[46:47], s[4:5], v[62:63]
	v_fmac_f64_e32 v[48:49], s[6:7], v[64:65]
	v_add_f64 v[32:33], v[22:23], -v[32:33]
	v_add_f64 v[30:31], v[30:31], v[24:25]
	v_fmac_f64_e32 v[42:43], s[4:5], v[58:59]
	v_fmac_f64_e32 v[44:45], s[6:7], v[60:61]
	s_mov_b32 s10, 0xcf328d46
	s_mov_b32 s14, 0xa6aea964
	v_add_f64 v[14:15], v[2:3], -v[14:15]
	v_add_f64 v[16:17], v[4:5], -v[16:17]
	v_fma_f64 v[38:39], v[38:39], 2.0, -v[90:91]
	v_fma_f64 v[40:41], v[40:41], 2.0, -v[92:93]
	v_fma_f64 v[26:27], v[26:27], 2.0, -v[20:21]
	v_fma_f64 v[28:29], v[28:29], 2.0, -v[18:19]
	v_fma_f64 v[56:57], v[56:57], 2.0, -v[46:47]
	v_fma_f64 v[54:55], v[54:55], 2.0, -v[48:49]
	v_add_f64 v[10:11], v[6:7], -v[10:11]
	v_add_f64 v[12:13], v[8:9], -v[12:13]
	v_fma_f64 v[34:35], v[34:35], 2.0, -v[98:99]
	v_fma_f64 v[36:37], v[36:37], 2.0, -v[100:101]
	v_fma_f64 v[22:23], v[22:23], 2.0, -v[32:33]
	v_fma_f64 v[24:25], v[24:25], 2.0, -v[30:31]
	v_fma_f64 v[52:53], v[52:53], 2.0, -v[42:43]
	v_fma_f64 v[50:51], v[50:51], 2.0, -v[44:45]
	s_mov_b32 s11, 0xbfed906b
	s_mov_b32 s15, 0xbfd87de2
	;; [unrolled: 1-line block ×6, first 2 shown]
	v_fma_f64 v[2:3], v[2:3], 2.0, -v[14:15]
	v_fma_f64 v[4:5], v[4:5], 2.0, -v[16:17]
	;; [unrolled: 1-line block ×4, first 2 shown]
	v_fma_f64 v[86:87], s[10:11], v[34:35], v[38:39]
	v_fma_f64 v[88:89], s[10:11], v[36:37], v[40:41]
	;; [unrolled: 1-line block ×12, first 2 shown]
	v_add_f64 v[78:79], v[2:3], -v[6:7]
	v_add_f64 v[80:81], v[4:5], -v[8:9]
	v_fmac_f64_e32 v[86:87], s[14:15], v[36:37]
	v_fmac_f64_e32 v[88:89], s[16:17], v[34:35]
	;; [unrolled: 1-line block ×6, first 2 shown]
	v_add_f64 v[110:111], v[14:15], -v[12:13]
	v_add_f64 v[112:113], v[16:17], v[10:11]
	v_fmac_f64_e32 v[114:115], s[10:11], v[100:101]
	v_fmac_f64_e32 v[116:117], s[18:19], v[98:99]
	;; [unrolled: 1-line block ×6, first 2 shown]
	v_fma_f64 v[62:63], v[2:3], 2.0, -v[78:79]
	v_fma_f64 v[64:65], v[4:5], 2.0, -v[80:81]
	;; [unrolled: 1-line block ×16, first 2 shown]
	v_lshlrev_b32_e32 v149, 8, v0
	s_waitcnt lgkmcnt(0)
	s_barrier
	s_and_saveexec_b64 s[4:5], vcc
	s_cbranch_execz .LBB0_7
; %bb.6:
	ds_write_b128 v149, v[62:65]
	ds_write_b128 v149, v[66:69] offset:16
	ds_write_b128 v149, v[70:73] offset:32
	;; [unrolled: 1-line block ×15, first 2 shown]
.LBB0_7:
	s_or_b64 exec, exec, s[4:5]
	s_load_dwordx2 s[0:1], s[0:1], 0x20
	s_waitcnt lgkmcnt(0)
	s_barrier
	s_and_saveexec_b64 s[4:5], vcc
	s_cbranch_execz .LBB0_9
; %bb.8:
	ds_read_b128 v[62:65], v146
	ds_read_b128 v[66:69], v146 offset:1536
	ds_read_b128 v[70:73], v146 offset:3072
	;; [unrolled: 1-line block ×15, first 2 shown]
.LBB0_9:
	s_or_b64 exec, exec, s[4:5]
	v_and_b32_e32 v1, 15, v0
	s_movk_i32 s4, 0xf0
	v_mov_b64_e32 v[2:3], s[2:3]
	v_mad_u64_u32 v[54:55], s[4:5], v1, s4, v[2:3]
	global_load_dwordx4 v[2:5], v[54:55], off
	global_load_dwordx4 v[22:25], v[54:55], off offset:16
	global_load_dwordx4 v[10:13], v[54:55], off offset:32
	;; [unrolled: 1-line block ×13, first 2 shown]
	s_nop 0
	global_load_dwordx4 v[54:57], v[54:55], off offset:224
	s_mov_b32 s4, 0x667f3bcd
	s_mov_b32 s5, 0xbfe6a09e
	;; [unrolled: 1-line block ×5, first 2 shown]
	s_waitcnt lgkmcnt(0)
	s_barrier
	s_waitcnt vmcnt(14)
	v_mul_f64 v[128:129], v[66:67], v[4:5]
	s_waitcnt vmcnt(13)
	v_mul_f64 v[132:133], v[70:71], v[24:25]
	v_mul_f64 v[130:131], v[72:73], v[24:25]
	s_waitcnt vmcnt(11)
	v_mul_f64 v[138:139], v[84:85], v[8:9]
	;; [unrolled: 3-line block ×3, first 2 shown]
	v_fmac_f64_e32 v[132:133], v[72:73], v[22:23]
	s_waitcnt vmcnt(7)
	v_mul_f64 v[158:159], v[80:81], v[20:21]
	v_mul_f64 v[160:161], v[78:79], v[20:21]
	s_waitcnt vmcnt(6)
	v_mul_f64 v[164:165], v[86:87], v[28:29]
	v_mul_f64 v[162:163], v[88:89], v[28:29]
	;; [unrolled: 3-line block ×3, first 2 shown]
	v_mul_f64 v[168:169], v[94:95], v[52:53]
	v_mul_f64 v[176:177], v[110:111], v[36:37]
	s_waitcnt vmcnt(1)
	v_mul_f64 v[184:185], v[118:119], v[60:61]
	v_fma_f64 v[72:73], v[82:83], v[6:7], -v[138:139]
	v_fma_f64 v[78:79], v[78:79], v[18:19], -v[158:159]
	v_fmac_f64_e32 v[160:161], v[80:81], v[18:19]
	v_fmac_f64_e32 v[164:165], v[88:89], v[26:27]
	v_fma_f64 v[88:89], v[110:111], v[34:35], -v[174:175]
	v_mul_f64 v[126:127], v[68:69], v[4:5]
	v_mul_f64 v[136:137], v[74:75], v[12:13]
	;; [unrolled: 1-line block ×6, first 2 shown]
	v_fmac_f64_e32 v[128:129], v[68:69], v[2:3]
	v_fma_f64 v[68:69], v[70:71], v[22:23], -v[130:131]
	v_fmac_f64_e32 v[140:141], v[84:85], v[6:7]
	v_fmac_f64_e32 v[152:153], v[100:101], v[38:39]
	v_fma_f64 v[84:85], v[94:95], v[50:51], -v[166:167]
	v_fmac_f64_e32 v[168:169], v[96:97], v[50:51]
	v_fmac_f64_e32 v[176:177], v[112:113], v[34:35]
	;; [unrolled: 1-line block ×3, first 2 shown]
	v_add_f64 v[78:79], v[62:63], -v[78:79]
	v_add_f64 v[96:97], v[64:65], -v[160:161]
	v_add_f64 v[88:89], v[72:73], -v[88:89]
	v_mul_f64 v[134:135], v[76:77], v[12:13]
	v_mul_f64 v[142:143], v[92:93], v[16:17]
	;; [unrolled: 1-line block ×4, first 2 shown]
	v_fmac_f64_e32 v[136:137], v[76:77], v[10:11]
	v_fmac_f64_e32 v[144:145], v[92:93], v[14:15]
	v_fma_f64 v[76:77], v[98:99], v[38:39], -v[150:151]
	v_fma_f64 v[82:83], v[106:107], v[30:31], -v[154:155]
	;; [unrolled: 1-line block ×3, first 2 shown]
	v_add_f64 v[98:99], v[140:141], -v[176:177]
	v_fma_f64 v[100:101], v[62:63], 2.0, -v[78:79]
	v_add_f64 v[62:63], v[68:69], -v[84:85]
	v_add_f64 v[106:107], v[152:153], -v[184:185]
	v_add_f64 v[112:113], v[96:97], v[88:89]
	v_mul_f64 v[172:173], v[102:103], v[44:45]
	v_fma_f64 v[80:81], v[86:87], v[26:27], -v[162:163]
	v_fma_f64 v[86:87], v[102:103], v[42:43], -v[170:171]
	v_fma_f64 v[102:103], v[64:65], 2.0, -v[96:97]
	v_fma_f64 v[72:73], v[72:73], 2.0, -v[88:89]
	v_add_f64 v[64:65], v[132:133], -v[168:169]
	v_add_f64 v[92:93], v[76:77], -v[92:93]
	;; [unrolled: 1-line block ×3, first 2 shown]
	v_fma_f64 v[88:89], v[96:97], 2.0, -v[112:113]
	v_add_f64 v[96:97], v[62:63], -v[106:107]
	v_fmac_f64_e32 v[172:173], v[104:105], v[42:43]
	v_fma_f64 v[104:105], v[140:141], 2.0, -v[98:99]
	v_fma_f64 v[76:77], v[76:77], 2.0, -v[92:93]
	;; [unrolled: 1-line block ×3, first 2 shown]
	v_add_f64 v[92:93], v[64:65], v[92:93]
	v_fma_f64 v[98:99], v[62:63], 2.0, -v[96:97]
	v_mul_f64 v[180:181], v[114:115], v[48:49]
	s_waitcnt vmcnt(0)
	v_mul_f64 v[188:189], v[122:123], v[56:57]
	v_fma_f64 v[68:69], v[68:69], 2.0, -v[62:63]
	v_fma_f64 v[84:85], v[132:133], 2.0, -v[64:65]
	;; [unrolled: 1-line block ×3, first 2 shown]
	v_fma_f64 v[62:63], s[4:5], v[98:99], v[78:79]
	v_mul_f64 v[178:179], v[116:117], v[48:49]
	v_mul_f64 v[186:187], v[124:125], v[56:57]
	v_fma_f64 v[66:67], v[66:67], v[2:3], -v[126:127]
	v_fma_f64 v[70:71], v[74:75], v[10:11], -v[134:135]
	v_fmac_f64_e32 v[156:157], v[108:109], v[30:31]
	v_fmac_f64_e32 v[180:181], v[116:117], v[46:47]
	;; [unrolled: 1-line block ×4, first 2 shown]
	v_fma_f64 v[64:65], s[4:5], v[64:65], v[88:89]
	v_fma_f64 v[126:127], s[6:7], v[96:97], v[110:111]
	v_fma_f64 v[74:75], v[90:91], v[14:15], -v[142:143]
	v_fma_f64 v[90:91], v[114:115], v[46:47], -v[178:179]
	;; [unrolled: 1-line block ×3, first 2 shown]
	v_fmac_f64_e32 v[64:65], s[6:7], v[98:99]
	v_fmac_f64_e32 v[126:127], s[4:5], v[92:93]
	v_fma_f64 v[130:131], s[6:7], v[92:93], v[112:113]
	v_add_f64 v[80:81], v[66:67], -v[80:81]
	v_add_f64 v[92:93], v[128:129], -v[164:165]
	;; [unrolled: 1-line block ×5, first 2 shown]
	v_fma_f64 v[108:109], v[152:153], 2.0, -v[106:107]
	v_fmac_f64_e32 v[130:131], s[6:7], v[96:97]
	v_fma_f64 v[96:97], v[128:129], 2.0, -v[92:93]
	v_add_f64 v[90:91], v[74:75], -v[90:91]
	v_fma_f64 v[106:107], v[144:145], 2.0, -v[98:99]
	v_add_f64 v[114:115], v[136:137], -v[172:173]
	v_add_f64 v[94:95], v[82:83], -v[94:95]
	;; [unrolled: 1-line block ×4, first 2 shown]
	v_fma_f64 v[66:67], v[66:67], 2.0, -v[80:81]
	v_fma_f64 v[74:75], v[74:75], 2.0, -v[90:91]
	v_fma_f64 v[70:71], v[70:71], 2.0, -v[86:87]
	v_fma_f64 v[82:83], v[82:83], 2.0, -v[94:95]
	v_add_f64 v[90:91], v[92:93], v[90:91]
	v_fma_f64 v[80:81], v[80:81], 2.0, -v[128:129]
	v_add_f64 v[94:95], v[114:115], v[94:95]
	v_fma_f64 v[86:87], v[86:87], 2.0, -v[98:99]
	v_fma_f64 v[132:133], s[6:7], v[98:99], v[128:129]
	v_fma_f64 v[116:117], v[136:137], 2.0, -v[114:115]
	v_fma_f64 v[120:121], v[156:157], 2.0, -v[118:119]
	;; [unrolled: 1-line block ×4, first 2 shown]
	v_fma_f64 v[118:119], s[4:5], v[86:87], v[80:81]
	v_fmac_f64_e32 v[132:133], s[4:5], v[94:95]
	v_fma_f64 v[94:95], s[6:7], v[94:95], v[90:91]
	v_fmac_f64_e32 v[118:119], s[4:5], v[114:115]
	;; [unrolled: 2-line block ×3, first 2 shown]
	v_add_f64 v[98:99], v[100:101], -v[72:73]
	v_add_f64 v[104:105], v[102:103], -v[104:105]
	v_fmac_f64_e32 v[114:115], s[6:7], v[86:87]
	v_fma_f64 v[72:73], v[100:101], 2.0, -v[98:99]
	v_fma_f64 v[86:87], v[102:103], 2.0, -v[104:105]
	v_add_f64 v[100:101], v[68:69], -v[76:77]
	v_add_f64 v[102:103], v[84:85], -v[108:109]
	;; [unrolled: 1-line block ×6, first 2 shown]
	v_fma_f64 v[68:69], v[68:69], 2.0, -v[100:101]
	v_fma_f64 v[76:77], v[84:85], 2.0, -v[102:103]
	;; [unrolled: 1-line block ×6, first 2 shown]
	v_add_f64 v[74:75], v[72:73], -v[68:69]
	v_add_f64 v[76:77], v[86:87], -v[76:77]
	;; [unrolled: 1-line block ×4, first 2 shown]
	v_fma_f64 v[66:67], v[72:73], 2.0, -v[74:75]
	v_fma_f64 v[68:69], v[86:87], 2.0, -v[76:77]
	;; [unrolled: 1-line block ×4, first 2 shown]
	v_add_f64 v[82:83], v[66:67], -v[70:71]
	v_add_f64 v[84:85], v[68:69], -v[72:73]
	v_fma_f64 v[70:71], v[78:79], 2.0, -v[62:63]
	v_fma_f64 v[72:73], v[88:89], 2.0, -v[64:65]
	;; [unrolled: 1-line block ×4, first 2 shown]
	v_fma_f64 v[88:89], s[10:11], v[80:81], v[72:73]
	v_add_f64 v[92:93], v[98:99], -v[102:103]
	v_add_f64 v[120:121], v[108:109], -v[120:121]
	v_fma_f64 v[86:87], s[10:11], v[78:79], v[70:71]
	v_fmac_f64_e32 v[88:89], s[16:17], v[78:79]
	v_add_f64 v[96:97], v[104:105], v[100:101]
	v_fma_f64 v[78:79], v[98:99], 2.0, -v[92:93]
	v_add_f64 v[136:137], v[106:107], v[122:123]
	v_fma_f64 v[102:103], v[108:109], 2.0, -v[120:121]
	v_fmac_f64_e32 v[86:87], s[14:15], v[80:81]
	v_fma_f64 v[80:81], v[104:105], 2.0, -v[96:97]
	v_fma_f64 v[104:105], v[106:107], 2.0, -v[136:137]
	v_fma_f64 v[98:99], s[4:5], v[102:103], v[78:79]
	v_fma_f64 v[124:125], v[112:113], 2.0, -v[130:131]
	v_fma_f64 v[90:91], v[90:91], 2.0, -v[94:95]
	v_fma_f64 v[100:101], s[4:5], v[104:105], v[80:81]
	v_fmac_f64_e32 v[98:99], s[4:5], v[104:105]
	v_fma_f64 v[122:123], v[110:111], 2.0, -v[126:127]
	v_fma_f64 v[106:107], v[128:129], 2.0, -v[132:133]
	v_fma_f64 v[104:105], s[14:15], v[90:91], v[124:125]
	v_fmac_f64_e32 v[100:101], s[6:7], v[102:103]
	v_fma_f64 v[102:103], s[14:15], v[106:107], v[122:123]
	v_fmac_f64_e32 v[104:105], s[18:19], v[106:107]
	v_add_f64 v[112:113], v[76:77], v[116:117]
	v_fma_f64 v[106:107], s[16:17], v[118:119], v[62:63]
	v_fma_f64 v[108:109], s[16:17], v[114:115], v[64:65]
	;; [unrolled: 1-line block ×3, first 2 shown]
	v_fmac_f64_e32 v[106:107], s[10:11], v[114:115]
	v_fmac_f64_e32 v[108:109], s[18:19], v[118:119]
	v_fma_f64 v[114:115], s[6:7], v[120:121], v[92:93]
	v_fmac_f64_e32 v[116:117], s[6:7], v[120:121]
	v_fma_f64 v[118:119], s[18:19], v[132:133], v[126:127]
	v_fma_f64 v[120:121], s[18:19], v[94:95], v[130:131]
	v_fmac_f64_e32 v[114:115], s[4:5], v[136:137]
	v_fmac_f64_e32 v[118:119], s[14:15], v[94:95]
	;; [unrolled: 1-line block ×4, first 2 shown]
	v_add_f64 v[110:111], v[74:75], -v[134:135]
	v_fma_f64 v[90:91], v[92:93], 2.0, -v[114:115]
	v_fma_f64 v[92:93], v[96:97], 2.0, -v[116:117]
	;; [unrolled: 1-line block ×4, first 2 shown]
	s_and_saveexec_b64 s[4:5], vcc
	s_cbranch_execz .LBB0_11
; %bb.10:
	s_movk_i32 s6, 0x700
	v_and_or_b32 v126, v146, s6, v1
	v_fma_f64 v[68:69], v[68:69], 2.0, -v[84:85]
	v_fma_f64 v[66:67], v[66:67], 2.0, -v[82:83]
	v_lshlrev_b32_e32 v126, 4, v126
	v_fma_f64 v[64:65], v[64:65], 2.0, -v[108:109]
	v_fma_f64 v[62:63], v[62:63], 2.0, -v[106:107]
	;; [unrolled: 1-line block ×10, first 2 shown]
	ds_write_b128 v126, v[66:69]
	ds_write_b128 v126, v[70:73] offset:256
	ds_write_b128 v126, v[78:81] offset:512
	ds_write_b128 v126, v[122:125] offset:768
	ds_write_b128 v126, v[74:77] offset:1024
	ds_write_b128 v126, v[62:65] offset:1280
	ds_write_b128 v126, v[90:93] offset:1536
	ds_write_b128 v126, v[94:97] offset:1792
	ds_write_b128 v126, v[82:85] offset:2048
	ds_write_b128 v126, v[86:89] offset:2304
	ds_write_b128 v126, v[98:101] offset:2560
	ds_write_b128 v126, v[102:105] offset:2816
	ds_write_b128 v126, v[110:113] offset:3072
	ds_write_b128 v126, v[106:109] offset:3328
	ds_write_b128 v126, v[114:117] offset:3584
	ds_write_b128 v126, v[118:121] offset:3840
.LBB0_11:
	s_or_b64 exec, exec, s[4:5]
	s_load_dwordx4 s[4:7], s[0:1], 0x0
	s_movk_i32 s0, 0x50
	v_mov_b64_e32 v[62:63], s[2:3]
	v_mad_u64_u32 v[142:143], s[0:1], v0, s0, v[62:63]
	s_waitcnt lgkmcnt(0)
	s_barrier
	ds_read_b128 v[138:141], v146
	ds_read_b128 v[78:81], v146 offset:4096
	ds_read_b128 v[122:125], v146 offset:8192
	;; [unrolled: 1-line block ×5, first 2 shown]
	global_load_dwordx4 v[62:65], v[142:143], off offset:3888
	global_load_dwordx4 v[66:69], v[142:143], off offset:3872
	;; [unrolled: 1-line block ×4, first 2 shown]
	s_mov_b32 s2, 0xe8584caa
	s_mov_b32 s3, 0x3febb67a
	s_mov_b32 s1, 0xbfebb67a
	s_mov_b32 s0, s2
	v_or_b32_e32 v147, 0x300, v0
	s_waitcnt vmcnt(0) lgkmcnt(4)
	v_mul_f64 v[144:145], v[80:81], v[76:77]
	v_fma_f64 v[144:145], v[78:79], v[74:75], -v[144:145]
	v_mul_f64 v[150:151], v[78:79], v[76:77]
	s_waitcnt lgkmcnt(3)
	v_mul_f64 v[78:79], v[124:125], v[72:73]
	v_fma_f64 v[152:153], v[122:123], v[70:71], -v[78:79]
	v_mul_f64 v[122:123], v[122:123], v[72:73]
	s_waitcnt lgkmcnt(2)
	v_mul_f64 v[78:79], v[128:129], v[68:69]
	v_fmac_f64_e32 v[122:123], v[124:125], v[70:71]
	v_fma_f64 v[124:125], v[126:127], v[66:67], -v[78:79]
	v_mul_f64 v[126:127], v[126:127], v[68:69]
	s_waitcnt lgkmcnt(1)
	v_mul_f64 v[78:79], v[132:133], v[64:65]
	v_fmac_f64_e32 v[150:151], v[80:81], v[74:75]
	v_fmac_f64_e32 v[126:127], v[128:129], v[66:67]
	v_fma_f64 v[128:129], v[130:131], v[62:63], -v[78:79]
	global_load_dwordx4 v[78:81], v[142:143], off offset:3904
	v_mul_f64 v[130:131], v[130:131], v[64:65]
	v_fmac_f64_e32 v[130:131], v[132:133], v[62:63]
	v_add_f64 v[142:143], v[152:153], v[128:129]
	s_waitcnt vmcnt(0) lgkmcnt(0)
	v_mul_f64 v[132:133], v[136:137], v[80:81]
	v_fma_f64 v[132:133], v[134:135], v[78:79], -v[132:133]
	v_mul_f64 v[134:135], v[134:135], v[80:81]
	v_fmac_f64_e32 v[134:135], v[136:137], v[78:79]
	v_add_f64 v[136:137], v[138:139], v[152:153]
	v_fmac_f64_e32 v[138:139], -0.5, v[142:143]
	v_add_f64 v[142:143], v[122:123], -v[130:131]
	v_fma_f64 v[154:155], s[2:3], v[142:143], v[138:139]
	v_fmac_f64_e32 v[138:139], s[0:1], v[142:143]
	v_add_f64 v[142:143], v[140:141], v[122:123]
	v_add_f64 v[122:123], v[122:123], v[130:131]
	v_fmac_f64_e32 v[140:141], -0.5, v[122:123]
	v_add_f64 v[122:123], v[152:153], -v[128:129]
	v_fma_f64 v[152:153], s[0:1], v[122:123], v[140:141]
	v_fmac_f64_e32 v[140:141], s[2:3], v[122:123]
	v_add_f64 v[122:123], v[144:145], v[124:125]
	v_add_f64 v[156:157], v[142:143], v[130:131]
	;; [unrolled: 1-line block ×4, first 2 shown]
	v_fmac_f64_e32 v[144:145], -0.5, v[122:123]
	v_add_f64 v[122:123], v[126:127], -v[134:135]
	v_fma_f64 v[158:159], s[2:3], v[122:123], v[144:145]
	v_fmac_f64_e32 v[144:145], s[0:1], v[122:123]
	v_add_f64 v[122:123], v[150:151], v[126:127]
	v_add_f64 v[160:161], v[122:123], v[134:135]
	;; [unrolled: 1-line block ×3, first 2 shown]
	v_fmac_f64_e32 v[150:151], -0.5, v[122:123]
	v_add_f64 v[122:123], v[124:125], -v[132:133]
	v_fma_f64 v[124:125], s[0:1], v[122:123], v[150:151]
	v_fmac_f64_e32 v[150:151], s[2:3], v[122:123]
	v_mul_f64 v[162:163], v[124:125], s[2:3]
	v_mul_f64 v[164:165], v[144:145], -0.5
	v_fmac_f64_e32 v[162:163], 0.5, v[158:159]
	v_fmac_f64_e32 v[164:165], s[2:3], v[150:151]
	v_mul_f64 v[158:159], v[158:159], s[0:1]
	v_mul_f64 v[150:151], v[150:151], -0.5
	v_add_f64 v[136:137], v[136:137], v[128:129]
	v_fmac_f64_e32 v[158:159], 0.5, v[124:125]
	v_fmac_f64_e32 v[150:151], s[0:1], v[144:145]
	v_add_f64 v[126:127], v[136:137], v[142:143]
	v_add_f64 v[122:123], v[154:155], v[162:163]
	;; [unrolled: 1-line block ×6, first 2 shown]
	v_add_f64 v[134:135], v[136:137], -v[142:143]
	v_add_f64 v[142:143], v[154:155], -v[162:163]
	v_add_f64 v[138:139], v[138:139], -v[164:165]
	v_add_f64 v[136:137], v[156:157], -v[160:161]
	v_add_f64 v[144:145], v[152:153], -v[158:159]
	v_add_f64 v[140:141], v[140:141], -v[150:151]
	v_lshlrev_b32_e32 v152, 4, v147
	ds_write_b128 v146, v[126:129]
	ds_write_b128 v146, v[122:125] offset:4096
	ds_write_b128 v146, v[130:133] offset:8192
	ds_write_b128 v146, v[134:137] offset:12288
	ds_write_b128 v146, v[142:145] offset:16384
	ds_write_b128 v146, v[138:141] offset:20480
	s_waitcnt lgkmcnt(0)
	s_barrier
	s_and_saveexec_b64 s[2:3], vcc
	s_cbranch_execz .LBB0_13
; %bb.12:
	s_add_u32 s10, s8, 0x6000
	s_addc_u32 s11, s9, 0
	ds_read_b128 v[154:157], v146
	global_load_dwordx4 v[158:161], v146, s[10:11]
	v_mov_b32_e32 v147, 0
	v_lshl_add_u64 v[150:151], s[10:11], 0, v[146:147]
	s_movk_i32 s0, 0x1000
	v_add_co_u32_e64 v166, s[0:1], s0, v150
	v_or_b32_e32 v147, 0x1800, v146
	s_nop 0
	v_addc_co_u32_e64 v167, s[0:1], 0, v151, s[0:1]
	s_movk_i32 s0, 0x2000
	s_waitcnt vmcnt(0) lgkmcnt(0)
	v_mul_f64 v[162:163], v[156:157], v[160:161]
	v_mul_f64 v[164:165], v[154:155], v[160:161]
	v_fma_f64 v[162:163], v[154:155], v[158:159], -v[162:163]
	v_fmac_f64_e32 v[164:165], v[156:157], v[158:159]
	ds_read_b128 v[154:157], v146 offset:1536
	global_load_dwordx4 v[158:161], v146, s[10:11] offset:1536
	ds_write_b128 v146, v[162:165]
	s_waitcnt vmcnt(0) lgkmcnt(1)
	v_mul_f64 v[162:163], v[156:157], v[160:161]
	v_mul_f64 v[164:165], v[154:155], v[160:161]
	v_fma_f64 v[162:163], v[154:155], v[158:159], -v[162:163]
	v_fmac_f64_e32 v[164:165], v[156:157], v[158:159]
	ds_read_b128 v[154:157], v146 offset:3072
	global_load_dwordx4 v[158:161], v146, s[10:11] offset:3072
	ds_write_b128 v146, v[162:165] offset:1536
	s_waitcnt vmcnt(0) lgkmcnt(1)
	v_mul_f64 v[162:163], v[156:157], v[160:161]
	v_mul_f64 v[164:165], v[154:155], v[160:161]
	v_fma_f64 v[162:163], v[154:155], v[158:159], -v[162:163]
	v_fmac_f64_e32 v[164:165], v[156:157], v[158:159]
	global_load_dwordx4 v[158:161], v[166:167], off offset:512
	ds_read_b128 v[154:157], v146 offset:4608
	ds_write_b128 v146, v[162:165] offset:3072
	s_waitcnt vmcnt(0) lgkmcnt(1)
	v_mul_f64 v[162:163], v[156:157], v[160:161]
	v_mul_f64 v[164:165], v[154:155], v[160:161]
	v_fma_f64 v[162:163], v[154:155], v[158:159], -v[162:163]
	v_fmac_f64_e32 v[164:165], v[156:157], v[158:159]
	global_load_dwordx4 v[158:161], v147, s[10:11]
	ds_read_b128 v[154:157], v146 offset:6144
	ds_write_b128 v146, v[162:165] offset:4608
	v_or_b32_e32 v147, 0x4800, v146
	s_waitcnt vmcnt(0) lgkmcnt(1)
	v_mul_f64 v[162:163], v[156:157], v[160:161]
	v_mul_f64 v[164:165], v[154:155], v[160:161]
	v_fma_f64 v[162:163], v[154:155], v[158:159], -v[162:163]
	v_fmac_f64_e32 v[164:165], v[156:157], v[158:159]
	global_load_dwordx4 v[158:161], v[166:167], off offset:3584
	ds_read_b128 v[154:157], v146 offset:7680
	v_add_co_u32_e64 v166, s[0:1], s0, v150
	ds_write_b128 v146, v[162:165] offset:6144
	s_nop 0
	v_addc_co_u32_e64 v167, s[0:1], 0, v151, s[0:1]
	s_movk_i32 s0, 0x3000
	s_waitcnt vmcnt(0) lgkmcnt(1)
	v_mul_f64 v[162:163], v[156:157], v[160:161]
	v_mul_f64 v[164:165], v[154:155], v[160:161]
	v_fma_f64 v[162:163], v[154:155], v[158:159], -v[162:163]
	v_fmac_f64_e32 v[164:165], v[156:157], v[158:159]
	global_load_dwordx4 v[158:161], v[166:167], off offset:1024
	ds_read_b128 v[154:157], v146 offset:9216
	ds_write_b128 v146, v[162:165] offset:7680
	s_waitcnt vmcnt(0) lgkmcnt(1)
	v_mul_f64 v[162:163], v[156:157], v[160:161]
	v_mul_f64 v[164:165], v[154:155], v[160:161]
	v_fma_f64 v[162:163], v[154:155], v[158:159], -v[162:163]
	v_fmac_f64_e32 v[164:165], v[156:157], v[158:159]
	global_load_dwordx4 v[158:161], v[166:167], off offset:2560
	ds_read_b128 v[154:157], v146 offset:10752
	ds_write_b128 v146, v[162:165] offset:9216
	v_add_co_u32_e64 v166, s[0:1], s0, v150
	s_waitcnt vmcnt(0) lgkmcnt(1)
	v_mul_f64 v[162:163], v[156:157], v[160:161]
	v_mul_f64 v[164:165], v[154:155], v[160:161]
	v_fma_f64 v[162:163], v[154:155], v[158:159], -v[162:163]
	v_fmac_f64_e32 v[164:165], v[156:157], v[158:159]
	global_load_dwordx4 v[158:161], v152, s[10:11]
	ds_read_b128 v[154:157], v146 offset:12288
	ds_write_b128 v146, v[162:165] offset:10752
	v_addc_co_u32_e64 v167, s[0:1], 0, v151, s[0:1]
	s_movk_i32 s0, 0x4000
	s_waitcnt vmcnt(0) lgkmcnt(1)
	v_mul_f64 v[162:163], v[156:157], v[160:161]
	v_mul_f64 v[164:165], v[154:155], v[160:161]
	v_fma_f64 v[162:163], v[154:155], v[158:159], -v[162:163]
	v_fmac_f64_e32 v[164:165], v[156:157], v[158:159]
	global_load_dwordx4 v[158:161], v[166:167], off offset:1536
	ds_read_b128 v[154:157], v146 offset:13824
	ds_write_b128 v146, v[162:165] offset:12288
	s_waitcnt vmcnt(0) lgkmcnt(1)
	v_mul_f64 v[162:163], v[156:157], v[160:161]
	v_mul_f64 v[164:165], v[154:155], v[160:161]
	v_fma_f64 v[162:163], v[154:155], v[158:159], -v[162:163]
	v_fmac_f64_e32 v[164:165], v[156:157], v[158:159]
	global_load_dwordx4 v[158:161], v[166:167], off offset:3072
	ds_read_b128 v[154:157], v146 offset:15360
	v_add_co_u32_e64 v166, s[0:1], s0, v150
	ds_write_b128 v146, v[162:165] offset:13824
	s_nop 0
	v_addc_co_u32_e64 v167, s[0:1], 0, v151, s[0:1]
	s_movk_i32 s0, 0x5000
	s_nop 0
	v_add_co_u32_e64 v150, s[0:1], s0, v150
	s_waitcnt vmcnt(0) lgkmcnt(1)
	v_mul_f64 v[162:163], v[156:157], v[160:161]
	v_mul_f64 v[164:165], v[154:155], v[160:161]
	v_fma_f64 v[162:163], v[154:155], v[158:159], -v[162:163]
	v_fmac_f64_e32 v[164:165], v[156:157], v[158:159]
	global_load_dwordx4 v[158:161], v[166:167], off offset:512
	ds_read_b128 v[154:157], v146 offset:16896
	ds_write_b128 v146, v[162:165] offset:15360
	v_addc_co_u32_e64 v151, s[0:1], 0, v151, s[0:1]
	s_waitcnt vmcnt(0) lgkmcnt(1)
	v_mul_f64 v[162:163], v[156:157], v[160:161]
	v_mul_f64 v[164:165], v[154:155], v[160:161]
	v_fma_f64 v[162:163], v[154:155], v[158:159], -v[162:163]
	v_fmac_f64_e32 v[164:165], v[156:157], v[158:159]
	global_load_dwordx4 v[158:161], v147, s[10:11]
	ds_read_b128 v[154:157], v146 offset:18432
	ds_write_b128 v146, v[162:165] offset:16896
	s_waitcnt vmcnt(0) lgkmcnt(1)
	v_mul_f64 v[162:163], v[156:157], v[160:161]
	v_mul_f64 v[164:165], v[154:155], v[160:161]
	v_fma_f64 v[162:163], v[154:155], v[158:159], -v[162:163]
	v_fmac_f64_e32 v[164:165], v[156:157], v[158:159]
	global_load_dwordx4 v[158:161], v[166:167], off offset:3584
	ds_read_b128 v[154:157], v146 offset:19968
	ds_write_b128 v146, v[162:165] offset:18432
	s_waitcnt vmcnt(0) lgkmcnt(1)
	v_mul_f64 v[162:163], v[156:157], v[160:161]
	v_mul_f64 v[164:165], v[154:155], v[160:161]
	v_fma_f64 v[162:163], v[154:155], v[158:159], -v[162:163]
	v_fmac_f64_e32 v[164:165], v[156:157], v[158:159]
	global_load_dwordx4 v[158:161], v[150:151], off offset:1024
	;; [unrolled: 8-line block ×3, first 2 shown]
	ds_read_b128 v[154:157], v146 offset:23040
	ds_write_b128 v146, v[162:165] offset:21504
	s_waitcnt vmcnt(0) lgkmcnt(1)
	v_mul_f64 v[150:151], v[156:157], v[160:161]
	v_mul_f64 v[164:165], v[154:155], v[160:161]
	v_fma_f64 v[162:163], v[154:155], v[158:159], -v[150:151]
	v_fmac_f64_e32 v[164:165], v[156:157], v[158:159]
	ds_write_b128 v146, v[162:165] offset:23040
.LBB0_13:
	s_or_b64 exec, exec, s[2:3]
	s_waitcnt lgkmcnt(0)
	s_barrier
	s_and_saveexec_b64 s[0:1], vcc
	s_cbranch_execz .LBB0_15
; %bb.14:
	ds_read_b128 v[126:129], v146
	ds_read_b128 v[122:125], v146 offset:1536
	ds_read_b128 v[130:133], v146 offset:3072
	;; [unrolled: 1-line block ×15, first 2 shown]
.LBB0_15:
	s_or_b64 exec, exec, s[0:1]
	s_waitcnt lgkmcnt(7)
	v_add_f64 v[82:83], v[126:127], -v[82:83]
	v_add_f64 v[84:85], v[128:129], -v[84:85]
	s_waitcnt lgkmcnt(3)
	v_add_f64 v[110:111], v[142:143], -v[110:111]
	v_add_f64 v[112:113], v[144:145], -v[112:113]
	;; [unrolled: 1-line block ×4, first 2 shown]
	s_waitcnt lgkmcnt(1)
	v_add_f64 v[114:115], v[90:91], -v[114:115]
	v_add_f64 v[116:117], v[92:93], -v[116:117]
	;; [unrolled: 1-line block ×8, first 2 shown]
	s_waitcnt lgkmcnt(0)
	v_add_f64 v[118:119], v[94:95], -v[118:119]
	v_add_f64 v[120:121], v[96:97], -v[120:121]
	v_fma_f64 v[142:143], v[142:143], 2.0, -v[110:111]
	v_fma_f64 v[144:145], v[144:145], 2.0, -v[112:113]
	;; [unrolled: 1-line block ×12, first 2 shown]
	v_add_f64 v[112:113], v[82:83], v[112:113]
	v_add_f64 v[110:111], v[84:85], -v[110:111]
	v_add_f64 v[116:117], v[116:117], v[98:99]
	v_add_f64 v[114:115], v[100:101], -v[114:115]
	s_mov_b32 s0, 0x667f3bcd
	v_fma_f64 v[126:127], v[126:127], 2.0, -v[82:83]
	v_fma_f64 v[128:129], v[128:129], 2.0, -v[84:85]
	;; [unrolled: 1-line block ×8, first 2 shown]
	v_add_f64 v[138:139], v[122:123], -v[138:139]
	v_add_f64 v[140:141], v[124:125], -v[140:141]
	;; [unrolled: 1-line block ×4, first 2 shown]
	s_mov_b32 s1, 0xbfe6a09e
	v_fma_f64 v[122:123], v[122:123], 2.0, -v[138:139]
	v_fma_f64 v[124:125], v[124:125], 2.0, -v[140:141]
	v_add_f64 v[108:109], v[108:109], v[86:87]
	v_add_f64 v[106:107], v[88:89], -v[106:107]
	v_fma_f64 v[134:135], v[134:135], 2.0, -v[94:95]
	v_fma_f64 v[136:137], v[136:137], 2.0, -v[96:97]
	v_add_f64 v[120:121], v[120:121], v[102:103]
	v_add_f64 v[118:119], v[104:105], -v[118:119]
	v_fma_f64 v[156:157], s[0:1], v[98:99], v[82:83]
	v_fma_f64 v[158:159], s[0:1], v[100:101], v[84:85]
	s_mov_b32 s3, 0x3fe6a09e
	s_mov_b32 s2, s0
	v_add_f64 v[142:143], v[126:127], -v[142:143]
	v_add_f64 v[144:145], v[128:129], -v[144:145]
	;; [unrolled: 1-line block ×4, first 2 shown]
	v_fma_f64 v[86:87], v[86:87], 2.0, -v[108:109]
	v_fma_f64 v[88:89], v[88:89], 2.0, -v[106:107]
	;; [unrolled: 1-line block ×4, first 2 shown]
	v_fmac_f64_e32 v[156:157], s[2:3], v[100:101]
	v_fmac_f64_e32 v[158:159], s[0:1], v[98:99]
	v_add_f64 v[134:135], v[122:123], -v[134:135]
	v_add_f64 v[136:137], v[124:125], -v[136:137]
	v_fma_f64 v[126:127], v[126:127], 2.0, -v[142:143]
	v_fma_f64 v[128:129], v[128:129], 2.0, -v[144:145]
	;; [unrolled: 1-line block ×6, first 2 shown]
	v_add_f64 v[160:161], v[142:143], v[92:93]
	v_add_f64 v[162:163], v[144:145], -v[90:91]
	v_fma_f64 v[164:165], s[2:3], v[116:117], v[112:113]
	v_fma_f64 v[166:167], s[2:3], v[114:115], v[110:111]
	v_fma_f64 v[82:83], v[122:123], 2.0, -v[134:135]
	v_fma_f64 v[84:85], v[124:125], 2.0, -v[136:137]
	v_fma_f64 v[122:123], s[0:1], v[102:103], v[86:87]
	v_fma_f64 v[124:125], s[0:1], v[104:105], v[88:89]
	v_add_f64 v[168:169], v[96:97], v[138:139]
	v_add_f64 v[170:171], v[140:141], -v[94:95]
	v_fma_f64 v[172:173], s[2:3], v[120:121], v[108:109]
	v_fma_f64 v[174:175], s[2:3], v[118:119], v[106:107]
	v_add_f64 v[150:151], v[126:127], -v[130:131]
	v_add_f64 v[154:155], v[128:129], -v[132:133]
	v_fma_f64 v[142:143], v[142:143], 2.0, -v[160:161]
	v_fma_f64 v[144:145], v[144:145], 2.0, -v[162:163]
	v_fmac_f64_e32 v[164:165], s[2:3], v[114:115]
	v_fmac_f64_e32 v[166:167], s[0:1], v[116:117]
	;; [unrolled: 1-line block ×4, first 2 shown]
	v_fma_f64 v[94:95], v[138:139], 2.0, -v[168:169]
	v_fma_f64 v[96:97], v[140:141], 2.0, -v[170:171]
	v_fmac_f64_e32 v[172:173], s[2:3], v[118:119]
	v_fmac_f64_e32 v[174:175], s[0:1], v[120:121]
	s_mov_b32 s10, 0xcf328d46
	s_mov_b32 s14, 0xa6aea964
	v_fma_f64 v[126:127], v[126:127], 2.0, -v[150:151]
	v_fma_f64 v[128:129], v[128:129], 2.0, -v[154:155]
	;; [unrolled: 1-line block ×8, first 2 shown]
	s_mov_b32 s11, 0xbfed906b
	s_mov_b32 s15, 0x3fd87de2
	;; [unrolled: 1-line block ×4, first 2 shown]
	v_fma_f64 v[130:131], s[0:1], v[94:95], v[142:143]
	v_fma_f64 v[132:133], s[0:1], v[96:97], v[144:145]
	v_add_f64 v[90:91], v[126:127], -v[82:83]
	v_add_f64 v[92:93], v[128:129], -v[84:85]
	v_fma_f64 v[102:103], s[10:11], v[86:87], v[98:99]
	v_fma_f64 v[104:105], s[10:11], v[88:89], v[100:101]
	v_fmac_f64_e32 v[130:131], s[2:3], v[96:97]
	v_fmac_f64_e32 v[132:133], s[0:1], v[94:95]
	v_fma_f64 v[118:119], s[16:17], v[108:109], v[114:115]
	v_fma_f64 v[120:121], s[16:17], v[106:107], v[116:117]
	s_mov_b32 s18, s10
	v_fma_f64 v[82:83], v[126:127], 2.0, -v[90:91]
	v_fma_f64 v[84:85], v[128:129], 2.0, -v[92:93]
	v_fmac_f64_e32 v[102:103], s[14:15], v[88:89]
	v_fmac_f64_e32 v[104:105], s[16:17], v[86:87]
	v_fma_f64 v[110:111], v[142:143], 2.0, -v[130:131]
	v_fma_f64 v[112:113], v[144:145], 2.0, -v[132:133]
	v_fmac_f64_e32 v[118:119], s[18:19], v[106:107]
	v_fmac_f64_e32 v[120:121], s[10:11], v[108:109]
	v_fma_f64 v[126:127], s[14:15], v[122:123], v[156:157]
	v_fma_f64 v[128:129], s[14:15], v[124:125], v[158:159]
	;; [unrolled: 1-line block ×6, first 2 shown]
	v_fma_f64 v[86:87], v[98:99], 2.0, -v[102:103]
	v_fma_f64 v[88:89], v[100:101], 2.0, -v[104:105]
	;; [unrolled: 1-line block ×4, first 2 shown]
	v_add_f64 v[114:115], v[150:151], v[136:137]
	v_add_f64 v[116:117], v[154:155], -v[134:135]
	v_fmac_f64_e32 v[126:127], s[18:19], v[124:125]
	v_fmac_f64_e32 v[128:129], s[10:11], v[122:123]
	;; [unrolled: 1-line block ×6, first 2 shown]
	v_fma_f64 v[94:95], v[150:151], 2.0, -v[114:115]
	v_fma_f64 v[96:97], v[154:155], 2.0, -v[116:117]
	;; [unrolled: 1-line block ×8, first 2 shown]
	s_barrier
	s_and_saveexec_b64 s[0:1], vcc
	s_cbranch_execz .LBB0_17
; %bb.16:
	ds_write_b128 v149, v[82:85]
	ds_write_b128 v149, v[86:89] offset:16
	ds_write_b128 v149, v[110:113] offset:32
	;; [unrolled: 1-line block ×15, first 2 shown]
.LBB0_17:
	s_or_b64 exec, exec, s[0:1]
	s_waitcnt lgkmcnt(0)
	s_barrier
	s_and_saveexec_b64 s[0:1], vcc
	s_cbranch_execz .LBB0_19
; %bb.18:
	ds_read_b128 v[82:85], v146
	ds_read_b128 v[86:89], v146 offset:1536
	ds_read_b128 v[110:113], v146 offset:3072
	;; [unrolled: 1-line block ×15, first 2 shown]
.LBB0_19:
	s_or_b64 exec, exec, s[0:1]
	s_waitcnt lgkmcnt(0)
	s_barrier
	s_and_saveexec_b64 s[0:1], vcc
	s_cbranch_execz .LBB0_21
; %bb.20:
	v_mul_f64 v[156:157], v[40:41], v[136:137]
	v_mul_f64 v[150:151], v[24:25], v[110:111]
	v_fmac_f64_e32 v[156:157], v[38:39], v[134:135]
	v_mul_f64 v[40:41], v[40:41], v[134:135]
	v_mul_f64 v[24:25], v[24:25], v[112:113]
	;; [unrolled: 1-line block ×4, first 2 shown]
	v_fma_f64 v[150:151], v[22:23], v[112:113], -v[150:151]
	v_fma_f64 v[38:39], v[38:39], v[136:137], -v[40:41]
	v_fmac_f64_e32 v[24:25], v[22:23], v[110:111]
	v_mul_f64 v[22:23], v[52:53], v[132:133]
	v_fmac_f64_e32 v[134:135], v[14:15], v[106:107]
	v_mul_f64 v[136:137], v[48:49], v[128:129]
	v_fma_f64 v[14:15], v[14:15], v[108:109], -v[16:17]
	v_mul_f64 v[16:17], v[48:49], v[126:127]
	v_mul_f64 v[154:155], v[52:53], v[130:131]
	v_fmac_f64_e32 v[22:23], v[50:51], v[130:131]
	v_mul_f64 v[130:131], v[4:5], v[86:87]
	v_fmac_f64_e32 v[136:137], v[46:47], v[126:127]
	v_fma_f64 v[16:17], v[46:47], v[128:129], -v[16:17]
	v_mul_f64 v[46:47], v[4:5], v[88:89]
	v_fma_f64 v[130:131], v[2:3], v[88:89], -v[130:131]
	v_fmac_f64_e32 v[46:47], v[2:3], v[86:87]
	v_mul_f64 v[2:3], v[28:29], v[104:105]
	v_fma_f64 v[154:155], v[50:51], v[132:133], -v[154:155]
	v_mul_f64 v[52:53], v[12:13], v[98:99]
	v_mul_f64 v[132:133], v[28:29], v[102:103]
	;; [unrolled: 1-line block ×3, first 2 shown]
	v_fmac_f64_e32 v[2:3], v[26:27], v[102:103]
	v_mul_f64 v[158:159], v[60:61], v[144:145]
	v_mul_f64 v[164:165], v[8:9], v[96:97]
	;; [unrolled: 1-line block ×3, first 2 shown]
	v_fma_f64 v[52:53], v[10:11], v[100:101], -v[52:53]
	v_mul_f64 v[60:61], v[32:33], v[124:125]
	v_mul_f64 v[110:111], v[56:57], v[140:141]
	v_fma_f64 v[132:133], v[26:27], v[104:105], -v[132:133]
	v_mul_f64 v[32:33], v[32:33], v[122:123]
	v_fmac_f64_e32 v[12:13], v[10:11], v[98:99]
	v_mul_f64 v[10:11], v[44:45], v[120:121]
	v_add_f64 v[26:27], v[46:47], -v[2:3]
	v_mul_f64 v[2:3], v[8:9], v[94:95]
	v_fmac_f64_e32 v[158:159], v[58:59], v[142:143]
	v_fmac_f64_e32 v[164:165], v[6:7], v[94:95]
	v_fma_f64 v[40:41], v[58:59], v[144:145], -v[40:41]
	v_mul_f64 v[58:59], v[44:45], v[118:119]
	v_fmac_f64_e32 v[60:61], v[30:31], v[122:123]
	v_fmac_f64_e32 v[110:111], v[54:55], v[138:139]
	v_fma_f64 v[30:31], v[30:31], v[124:125], -v[32:33]
	v_mul_f64 v[32:33], v[56:57], v[138:139]
	v_fmac_f64_e32 v[10:11], v[42:43], v[118:119]
	v_fma_f64 v[6:7], v[6:7], v[96:97], -v[2:3]
	v_mul_f64 v[2:3], v[36:37], v[114:115]
	v_mul_f64 v[162:163], v[20:21], v[90:91]
	v_fma_f64 v[58:59], v[42:43], v[120:121], -v[58:59]
	v_add_f64 v[110:111], v[60:61], -v[110:111]
	v_fma_f64 v[32:33], v[54:55], v[140:141], -v[32:33]
	v_add_f64 v[42:43], v[12:13], -v[10:11]
	v_fma_f64 v[2:3], v[34:35], v[116:117], -v[2:3]
	v_fma_f64 v[162:163], v[18:19], v[92:93], -v[162:163]
	v_mul_f64 v[166:167], v[36:37], v[116:117]
	v_add_f64 v[58:59], v[52:53], -v[58:59]
	v_add_f64 v[32:33], v[30:31], -v[32:33]
	;; [unrolled: 1-line block ×3, first 2 shown]
	v_mul_f64 v[2:3], v[20:21], v[92:93]
	v_fma_f64 v[92:93], v[12:13], 2.0, -v[42:43]
	v_fma_f64 v[12:13], v[60:61], 2.0, -v[110:111]
	v_fmac_f64_e32 v[166:167], v[34:35], v[114:115]
	v_add_f64 v[136:137], v[134:135], -v[136:137]
	v_add_f64 v[60:61], v[92:93], -v[12:13]
	v_fma_f64 v[52:53], v[52:53], 2.0, -v[58:59]
	v_fma_f64 v[12:13], v[30:31], 2.0, -v[32:33]
	v_add_f64 v[154:155], v[150:151], -v[154:155]
	v_add_f64 v[158:159], v[156:157], -v[158:159]
	;; [unrolled: 1-line block ×4, first 2 shown]
	s_mov_b32 s2, 0x667f3bcd
	v_add_f64 v[40:41], v[38:39], -v[40:41]
	v_add_f64 v[132:133], v[130:131], -v[132:133]
	v_add_f64 v[44:45], v[32:33], v[42:43]
	v_fmac_f64_e32 v[2:3], v[18:19], v[90:91]
	v_add_f64 v[32:33], v[52:53], -v[12:13]
	v_fma_f64 v[30:31], v[46:47], 2.0, -v[26:27]
	v_fma_f64 v[12:13], v[134:135], 2.0, -v[136:137]
	v_add_f64 v[160:161], v[154:155], -v[158:159]
	v_add_f64 v[168:169], v[162:163], -v[166:167]
	s_mov_b32 s3, 0x3fe6a09e
	v_add_f64 v[22:23], v[24:25], -v[22:23]
	v_add_f64 v[112:113], v[58:59], -v[110:111]
	;; [unrolled: 1-line block ×6, first 2 shown]
	v_fma_f64 v[46:47], v[150:151], 2.0, -v[154:155]
	v_fma_f64 v[12:13], v[38:39], 2.0, -v[40:41]
	v_fma_f64 v[170:171], s[2:3], v[160:161], v[168:169]
	v_add_f64 v[50:51], v[40:41], v[22:23]
	s_mov_b32 s11, 0xbfe6a09e
	s_mov_b32 s10, s2
	v_fma_f64 v[144:145], s[2:3], v[112:113], v[142:143]
	v_add_f64 v[48:49], v[16:17], v[26:27]
	v_add_f64 v[38:39], v[46:47], -v[12:13]
	v_fma_f64 v[40:41], v[82:83], 2.0, -v[20:21]
	v_fma_f64 v[12:13], v[164:165], 2.0, -v[166:167]
	v_fmac_f64_e32 v[170:171], s[10:11], v[50:51]
	v_fmac_f64_e32 v[144:145], s[10:11], v[44:45]
	v_fma_f64 v[54:55], s[2:3], v[44:45], v[48:49]
	s_mov_b32 s14, 0xa6aea964
	v_fma_f64 v[34:35], v[84:85], 2.0, -v[162:163]
	v_fma_f64 v[6:7], v[6:7], 2.0, -v[28:29]
	v_add_f64 v[82:83], v[40:41], -v[12:13]
	s_mov_b32 s16, 0xcf328d46
	v_fmac_f64_e32 v[54:55], s[2:3], v[112:113]
	s_mov_b32 s15, 0xbfd87de2
	v_add_f64 v[36:37], v[20:21], v[28:29]
	v_add_f64 v[6:7], v[34:35], -v[6:7]
	v_fma_f64 v[42:43], v[42:43], 2.0, -v[44:45]
	v_fma_f64 v[122:123], v[30:31], 2.0, -v[96:97]
	;; [unrolled: 1-line block ×6, first 2 shown]
	s_mov_b32 s17, 0x3fed906b
	v_fma_f64 v[56:57], s[2:3], v[50:51], v[36:37]
	v_fma_f64 v[28:29], v[24:25], 2.0, -v[22:23]
	v_fma_f64 v[18:19], v[156:157], 2.0, -v[158:159]
	;; [unrolled: 1-line block ×4, first 2 shown]
	v_add_f64 v[100:101], v[82:83], v[38:39]
	v_fma_f64 v[106:107], v[132:133], 2.0, -v[142:143]
	v_fma_f64 v[58:59], v[58:59], 2.0, -v[112:113]
	s_mov_b32 s21, 0xbfed906b
	s_mov_b32 s20, s16
	v_fma_f64 v[118:119], v[34:35], 2.0, -v[6:7]
	v_fma_f64 v[34:35], v[46:47], 2.0, -v[38:39]
	v_fma_f64 v[38:39], s[14:15], v[44:45], v[40:41]
	v_fma_f64 v[46:47], v[48:49], 2.0, -v[54:55]
	v_fmac_f64_e32 v[56:57], s[2:3], v[160:161]
	v_add_f64 v[84:85], v[28:29], -v[18:19]
	v_add_f64 v[90:91], v[88:89], -v[14:15]
	v_fma_f64 v[108:109], s[10:11], v[58:59], v[106:107]
	v_fma_f64 v[110:111], v[26:27], 2.0, -v[48:49]
	v_fmac_f64_e32 v[38:39], s[20:21], v[46:47]
	v_add_f64 v[86:87], v[6:7], -v[84:85]
	v_add_f64 v[94:95], v[90:91], -v[60:61]
	v_fmac_f64_e32 v[108:109], s[10:11], v[42:43]
	v_fma_f64 v[112:113], s[10:11], v[42:43], v[110:111]
	v_fma_f64 v[42:43], v[40:41], 2.0, -v[38:39]
	v_fma_f64 v[40:41], v[36:37], 2.0, -v[56:57]
	v_add_f64 v[98:99], v[32:33], v[96:97]
	v_fma_f64 v[114:115], v[20:21], 2.0, -v[36:37]
	v_fma_f64 v[36:37], s[14:15], v[46:47], v[40:41]
	v_fma_f64 v[6:7], v[6:7], 2.0, -v[86:87]
	v_fma_f64 v[48:49], v[90:91], 2.0, -v[94:95]
	v_fma_f64 v[102:103], v[162:163], 2.0, -v[168:169]
	v_fma_f64 v[24:25], v[154:155], 2.0, -v[160:161]
	v_fmac_f64_e32 v[36:37], s[16:17], v[44:45]
	v_fma_f64 v[46:47], s[10:11], v[48:49], v[6:7]
	v_fma_f64 v[44:45], v[96:97], 2.0, -v[98:99]
	v_fma_f64 v[104:105], s[10:11], v[24:25], v[102:103]
	v_fma_f64 v[50:51], v[22:23], 2.0, -v[50:51]
	v_fmac_f64_e32 v[46:47], s[10:11], v[44:45]
	v_fmac_f64_e32 v[104:105], s[10:11], v[50:51]
	v_fma_f64 v[116:117], s[10:11], v[50:51], v[114:115]
	v_fma_f64 v[50:51], v[6:7], 2.0, -v[46:47]
	v_fma_f64 v[6:7], v[82:83], 2.0, -v[100:101]
	v_fma_f64 v[8:9], s[16:17], v[54:55], v[56:57]
	s_mov_b32 s19, 0x3fd87de2
	s_mov_b32 s18, s14
	v_fma_f64 v[44:45], s[10:11], v[44:45], v[6:7]
	v_fmac_f64_e32 v[8:9], s[18:19], v[144:145]
	v_fmac_f64_e32 v[44:45], s[2:3], v[48:49]
	v_fma_f64 v[10:11], s[16:17], v[144:145], v[170:171]
	v_fma_f64 v[2:3], v[56:57], 2.0, -v[8:9]
	v_fmac_f64_e32 v[112:113], s[2:3], v[58:59]
	v_fma_f64 v[28:29], v[28:29], 2.0, -v[84:85]
	v_fma_f64 v[48:49], v[6:7], 2.0, -v[44:45]
	;; [unrolled: 1-line block ×4, first 2 shown]
	v_fmac_f64_e32 v[10:11], s[14:15], v[54:55]
	v_add_f64 v[124:125], v[92:93], -v[28:29]
	v_fma_f64 v[28:29], v[52:53], 2.0, -v[32:33]
	v_fma_f64 v[54:55], s[20:21], v[56:57], v[6:7]
	v_fma_f64 v[52:53], v[110:111], 2.0, -v[112:113]
	v_fmac_f64_e32 v[116:117], s[2:3], v[24:25]
	v_fmac_f64_e32 v[54:55], s[14:15], v[52:53]
	v_fma_f64 v[58:59], v[6:7], 2.0, -v[54:55]
	v_fma_f64 v[6:7], v[114:115], 2.0, -v[116:117]
	v_fma_f64 v[84:85], v[88:89], 2.0, -v[90:91]
	v_fma_f64 v[52:53], s[20:21], v[52:53], v[6:7]
	v_add_f64 v[120:121], v[118:119], -v[34:35]
	v_add_f64 v[88:89], v[84:85], -v[28:29]
	v_fmac_f64_e32 v[52:53], s[18:19], v[56:57]
	v_fma_f64 v[56:57], v[6:7], 2.0, -v[52:53]
	v_fma_f64 v[6:7], v[118:119], 2.0, -v[120:121]
	;; [unrolled: 1-line block ×3, first 2 shown]
	v_fma_f64 v[12:13], s[2:3], v[98:99], v[100:101]
	v_add_f64 v[60:61], v[122:123], -v[30:31]
	v_add_f64 v[84:85], v[6:7], -v[82:83]
	v_fma_f64 v[14:15], s[2:3], v[94:95], v[86:87]
	v_fmac_f64_e32 v[12:13], s[2:3], v[94:95]
	v_add_f64 v[30:31], v[120:121], -v[60:61]
	v_add_f64 v[28:29], v[124:125], v[88:89]
	v_fma_f64 v[88:89], v[6:7], 2.0, -v[84:85]
	v_fma_f64 v[6:7], v[92:93], 2.0, -v[124:125]
	;; [unrolled: 1-line block ×3, first 2 shown]
	s_movk_i32 s2, 0x700
	v_fmac_f64_e32 v[14:15], s[10:11], v[98:99]
	v_fma_f64 v[22:23], s[18:19], v[108:109], v[104:105]
	v_fma_f64 v[20:21], s[18:19], v[112:113], v[116:117]
	v_add_f64 v[82:83], v[6:7], -v[60:61]
	v_and_or_b32 v1, v146, s2, v1
	v_fma_f64 v[18:19], v[86:87], 2.0, -v[14:15]
	v_fmac_f64_e32 v[22:23], s[20:21], v[112:113]
	v_fmac_f64_e32 v[20:21], s[16:17], v[108:109]
	v_fma_f64 v[86:87], v[6:7], 2.0, -v[82:83]
	v_lshlrev_b32_e32 v1, 4, v1
	v_fma_f64 v[4:5], v[170:171], 2.0, -v[10:11]
	v_fma_f64 v[16:17], v[100:101], 2.0, -v[12:13]
	;; [unrolled: 1-line block ×7, first 2 shown]
	ds_write_b128 v1, v[86:89]
	ds_write_b128 v1, v[56:59] offset:256
	ds_write_b128 v1, v[48:51] offset:512
	;; [unrolled: 1-line block ×15, first 2 shown]
.LBB0_21:
	s_or_b64 exec, exec, s[0:1]
	s_waitcnt lgkmcnt(0)
	s_barrier
	ds_read_b128 v[2:5], v146
	ds_read_b128 v[6:9], v146 offset:4096
	ds_read_b128 v[10:13], v146 offset:8192
	;; [unrolled: 1-line block ×5, first 2 shown]
	s_waitcnt lgkmcnt(4)
	v_mul_f64 v[26:27], v[76:77], v[8:9]
	v_fmac_f64_e32 v[26:27], v[74:75], v[6:7]
	v_mul_f64 v[6:7], v[76:77], v[6:7]
	v_fma_f64 v[28:29], v[74:75], v[8:9], -v[6:7]
	s_waitcnt lgkmcnt(3)
	v_mul_f64 v[6:7], v[72:73], v[12:13]
	v_mul_f64 v[8:9], v[72:73], v[10:11]
	v_fmac_f64_e32 v[6:7], v[70:71], v[10:11]
	v_fma_f64 v[8:9], v[70:71], v[12:13], -v[8:9]
	s_waitcnt lgkmcnt(2)
	v_mul_f64 v[10:11], v[68:69], v[16:17]
	v_mul_f64 v[12:13], v[68:69], v[14:15]
	v_fmac_f64_e32 v[10:11], v[66:67], v[14:15]
	;; [unrolled: 5-line block ×3, first 2 shown]
	v_fma_f64 v[16:17], v[62:63], v[20:21], -v[16:17]
	s_waitcnt lgkmcnt(0)
	v_mul_f64 v[20:21], v[80:81], v[22:23]
	v_mul_f64 v[18:19], v[80:81], v[24:25]
	v_fma_f64 v[20:21], v[78:79], v[24:25], -v[20:21]
	v_add_f64 v[24:25], v[6:7], v[14:15]
	s_mov_b32 s0, 0xe8584caa
	v_fmac_f64_e32 v[18:19], v[78:79], v[22:23]
	v_add_f64 v[22:23], v[2:3], v[6:7]
	v_fmac_f64_e32 v[2:3], -0.5, v[24:25]
	v_add_f64 v[24:25], v[8:9], -v[16:17]
	s_mov_b32 s1, 0xbfebb67a
	s_mov_b32 s3, 0x3febb67a
	;; [unrolled: 1-line block ×3, first 2 shown]
	v_fma_f64 v[30:31], s[0:1], v[24:25], v[2:3]
	v_fmac_f64_e32 v[2:3], s[2:3], v[24:25]
	v_add_f64 v[24:25], v[4:5], v[8:9]
	v_add_f64 v[8:9], v[8:9], v[16:17]
	v_fmac_f64_e32 v[4:5], -0.5, v[8:9]
	v_add_f64 v[6:7], v[6:7], -v[14:15]
	v_fma_f64 v[32:33], s[2:3], v[6:7], v[4:5]
	v_fmac_f64_e32 v[4:5], s[0:1], v[6:7]
	v_add_f64 v[6:7], v[26:27], v[10:11]
	v_add_f64 v[34:35], v[6:7], v[18:19]
	;; [unrolled: 1-line block ×3, first 2 shown]
	v_fmac_f64_e32 v[26:27], -0.5, v[6:7]
	v_add_f64 v[6:7], v[12:13], -v[20:21]
	v_add_f64 v[24:25], v[24:25], v[16:17]
	v_fma_f64 v[16:17], s[0:1], v[6:7], v[26:27]
	v_fmac_f64_e32 v[26:27], s[2:3], v[6:7]
	v_add_f64 v[6:7], v[28:29], v[12:13]
	v_add_f64 v[36:37], v[6:7], v[20:21]
	;; [unrolled: 1-line block ×3, first 2 shown]
	v_fmac_f64_e32 v[28:29], -0.5, v[6:7]
	v_add_f64 v[6:7], v[10:11], -v[18:19]
	v_fma_f64 v[12:13], s[2:3], v[6:7], v[28:29]
	v_fmac_f64_e32 v[28:29], s[0:1], v[6:7]
	v_add_f64 v[22:23], v[22:23], v[14:15]
	v_mul_f64 v[20:21], v[12:13], s[0:1]
	v_mul_f64 v[38:39], v[28:29], s[0:1]
	v_mul_f64 v[40:41], v[12:13], 0.5
	v_mul_f64 v[28:29], v[28:29], -0.5
	v_add_f64 v[6:7], v[22:23], v[34:35]
	v_fmac_f64_e32 v[20:21], 0.5, v[16:17]
	v_fmac_f64_e32 v[38:39], -0.5, v[26:27]
	v_add_f64 v[8:9], v[24:25], v[36:37]
	v_fmac_f64_e32 v[40:41], s[2:3], v[16:17]
	v_fmac_f64_e32 v[28:29], s[2:3], v[26:27]
	v_add_f64 v[10:11], v[30:31], v[20:21]
	v_add_f64 v[14:15], v[2:3], v[38:39]
	v_add_f64 v[12:13], v[32:33], v[40:41]
	v_add_f64 v[16:17], v[4:5], v[28:29]
	v_add_f64 v[18:19], v[22:23], -v[34:35]
	v_add_f64 v[22:23], v[30:31], -v[20:21]
	;; [unrolled: 1-line block ×6, first 2 shown]
	ds_write_b128 v146, v[6:9]
	ds_write_b128 v146, v[10:13] offset:4096
	ds_write_b128 v146, v[14:17] offset:8192
	;; [unrolled: 1-line block ×5, first 2 shown]
	s_waitcnt lgkmcnt(0)
	s_barrier
	s_and_b64 exec, exec, vcc
	s_cbranch_execz .LBB0_23
; %bb.22:
	global_load_dwordx4 v[2:5], v146, s[8:9]
	global_load_dwordx4 v[6:9], v146, s[8:9] offset:1536
	global_load_dwordx4 v[10:13], v146, s[8:9] offset:3072
	v_mov_b32_e32 v147, 0
	s_movk_i32 s0, 0x1000
	v_lshl_add_u64 v[26:27], s[8:9], 0, v[146:147]
	v_add_co_u32_e32 v28, vcc, s0, v26
	v_or_b32_e32 v76, 0x180, v0
	s_nop 0
	v_addc_co_u32_e32 v29, vcc, 0, v27, vcc
	global_load_dwordx4 v[22:25], v[28:29], off offset:512
	v_lshlrev_b32_e32 v1, 4, v76
	global_load_dwordx4 v[18:21], v1, s[8:9]
	ds_read_b128 v[30:33], v146
	ds_read_b128 v[34:37], v146 offset:1536
	ds_read_b128 v[38:41], v146 offset:3072
	;; [unrolled: 1-line block ×3, first 2 shown]
	global_load_dwordx4 v[14:17], v152, s[8:9]
	global_load_dwordx4 v[46:49], v[28:29], off offset:3584
	v_mad_u64_u32 v[66:67], s[2:3], s4, v0, 0
	s_movk_i32 s3, 0x2000
	v_mad_u64_u32 v[64:65], s[0:1], s6, v148, 0
	v_add_co_u32_e32 v68, vcc, s3, v26
	s_movk_i32 s10, 0x3000
	v_mov_b32_e32 v50, v65
	v_mov_b32_e32 v52, v67
	v_addc_co_u32_e32 v69, vcc, 0, v27, vcc
	v_mad_u64_u32 v[28:29], s[6:7], s7, v148, v[50:51]
	v_mad_u64_u32 v[50:51], s[6:7], s5, v0, v[52:53]
	v_add_co_u32_e32 v70, vcc, s10, v26
	v_mov_b32_e32 v67, v50
	s_nop 0
	v_addc_co_u32_e32 v71, vcc, 0, v27, vcc
	global_load_dwordx4 v[50:53], v[68:69], off offset:1024
	global_load_dwordx4 v[54:57], v[68:69], off offset:2560
	;; [unrolled: 1-line block ×3, first 2 shown]
	v_mov_b32_e32 v62, s12
	v_mov_b32_e32 v63, s13
	;; [unrolled: 1-line block ×3, first 2 shown]
	v_lshl_add_u64 v[28:29], v[64:65], 4, v[62:63]
	v_mov_b32_e32 v1, 0x600
	v_lshl_add_u64 v[62:63], v[66:67], 4, v[28:29]
	s_mov_b32 s0, 0x55555555
	s_mul_i32 s2, s5, 0x600
	v_mad_u64_u32 v[64:65], s[6:7], s4, v1, v[62:63]
	s_mov_b32 s1, 0x3f455555
	v_add_u32_e32 v65, s2, v65
	v_mad_u64_u32 v[66:67], s[6:7], s4, v1, v[64:65]
	v_add_u32_e32 v67, s2, v67
	s_movk_i32 s3, 0x4000
	s_waitcnt vmcnt(9) lgkmcnt(3)
	v_mul_f64 v[68:69], v[32:33], v[4:5]
	v_mul_f64 v[4:5], v[30:31], v[4:5]
	s_waitcnt vmcnt(8) lgkmcnt(2)
	v_mul_f64 v[72:73], v[36:37], v[8:9]
	v_mul_f64 v[8:9], v[34:35], v[8:9]
	;; [unrolled: 3-line block ×3, first 2 shown]
	v_fmac_f64_e32 v[68:69], v[30:31], v[2:3]
	v_fma_f64 v[4:5], v[2:3], v[32:33], -v[4:5]
	v_fmac_f64_e32 v[72:73], v[34:35], v[6:7]
	v_fma_f64 v[8:9], v[6:7], v[36:37], -v[8:9]
	;; [unrolled: 2-line block ×3, first 2 shown]
	v_mul_f64 v[2:3], v[68:69], s[0:1]
	v_mul_f64 v[4:5], v[4:5], s[0:1]
	;; [unrolled: 1-line block ×6, first 2 shown]
	global_store_dwordx4 v[62:63], v[2:5], off
	global_store_dwordx4 v[64:65], v[6:9], off
	;; [unrolled: 1-line block ×3, first 2 shown]
	ds_read_b128 v[6:9], v146 offset:6144
	s_waitcnt vmcnt(9) lgkmcnt(1)
	v_mul_f64 v[2:3], v[44:45], v[24:25]
	v_mul_f64 v[4:5], v[42:43], v[24:25]
	v_fmac_f64_e32 v[2:3], v[42:43], v[22:23]
	v_fma_f64 v[4:5], v[22:23], v[44:45], -v[4:5]
	v_mad_u64_u32 v[30:31], s[6:7], s4, v1, v[66:67]
	v_mul_f64 v[2:3], v[2:3], s[0:1]
	v_mul_f64 v[4:5], v[4:5], s[0:1]
	v_add_u32_e32 v31, s2, v31
	global_store_dwordx4 v[30:31], v[2:5], off
	ds_read_b128 v[2:5], v146 offset:7680
	s_waitcnt vmcnt(9) lgkmcnt(1)
	v_mul_f64 v[10:11], v[8:9], v[20:21]
	global_load_dwordx4 v[22:25], v[70:71], off offset:3072
	v_fmac_f64_e32 v[10:11], v[6:7], v[18:19]
	v_mul_f64 v[6:7], v[6:7], v[20:21]
	v_add_co_u32_e32 v32, vcc, s3, v26
	v_fma_f64 v[6:7], v[18:19], v[8:9], -v[6:7]
	s_nop 0
	v_addc_co_u32_e32 v33, vcc, 0, v27, vcc
	v_mul_f64 v[12:13], v[6:7], s[0:1]
	global_load_dwordx4 v[6:9], v[32:33], off offset:512
	v_mad_u64_u32 v[18:19], s[6:7], s4, v76, 0
	v_mov_b32_e32 v20, v19
	v_mad_u64_u32 v[20:21], s[6:7], s5, v76, v[20:21]
	v_mov_b32_e32 v19, v20
	v_or_b32_e32 v40, 0x480, v0
	v_mul_f64 v[10:11], v[10:11], s[0:1]
	v_lshl_add_u64 v[18:19], v[18:19], 4, v[28:29]
	v_lshlrev_b32_e32 v0, 4, v40
	global_store_dwordx4 v[18:19], v[10:13], off
	global_load_dwordx4 v[10:13], v0, s[8:9]
	v_mov_b32_e32 v41, 0xc00
	v_mad_u64_u32 v[38:39], s[6:7], s4, v41, v[30:31]
	global_load_dwordx4 v[30:33], v[32:33], off offset:3584
	s_waitcnt vmcnt(12) lgkmcnt(0)
	v_mul_f64 v[18:19], v[4:5], v[48:49]
	v_fmac_f64_e32 v[18:19], v[2:3], v[46:47]
	v_mul_f64 v[2:3], v[2:3], v[48:49]
	v_fma_f64 v[2:3], v[46:47], v[4:5], -v[2:3]
	v_mul_f64 v[20:21], v[2:3], s[0:1]
	ds_read_b128 v[2:5], v146 offset:9216
	s_mul_i32 s3, s5, 0xc00
	v_mul_f64 v[18:19], v[18:19], s[0:1]
	v_add_u32_e32 v39, s3, v39
	global_store_dwordx4 v[38:39], v[18:21], off
	ds_read_b128 v[18:21], v146 offset:10752
	s_waitcnt vmcnt(12) lgkmcnt(1)
	v_mul_f64 v[34:35], v[4:5], v[52:53]
	v_fmac_f64_e32 v[34:35], v[2:3], v[50:51]
	v_mul_f64 v[2:3], v[2:3], v[52:53]
	v_fma_f64 v[2:3], v[50:51], v[4:5], -v[2:3]
	v_mad_u64_u32 v[38:39], s[6:7], s4, v1, v[38:39]
	v_mul_f64 v[34:35], v[34:35], s[0:1]
	v_mul_f64 v[36:37], v[2:3], s[0:1]
	v_add_u32_e32 v39, s2, v39
	s_waitcnt vmcnt(11) lgkmcnt(0)
	v_mul_f64 v[2:3], v[20:21], v[56:57]
	v_mul_f64 v[4:5], v[18:19], v[56:57]
	global_store_dwordx4 v[38:39], v[34:37], off
	v_fmac_f64_e32 v[2:3], v[18:19], v[54:55]
	v_fma_f64 v[4:5], v[54:55], v[20:21], -v[4:5]
	ds_read_b128 v[18:21], v146 offset:12288
	v_mad_u64_u32 v[38:39], s[6:7], s4, v1, v[38:39]
	v_mul_f64 v[2:3], v[2:3], s[0:1]
	v_mul_f64 v[4:5], v[4:5], s[0:1]
	v_add_u32_e32 v39, s2, v39
	global_store_dwordx4 v[38:39], v[2:5], off
	ds_read_b128 v[2:5], v146 offset:13824
	s_waitcnt lgkmcnt(1)
	v_mul_f64 v[34:35], v[20:21], v[16:17]
	v_mul_f64 v[16:17], v[18:19], v[16:17]
	v_fmac_f64_e32 v[34:35], v[18:19], v[14:15]
	v_fma_f64 v[14:15], v[14:15], v[20:21], -v[16:17]
	v_mul_f64 v[36:37], v[14:15], s[0:1]
	s_waitcnt vmcnt(12) lgkmcnt(0)
	v_mul_f64 v[14:15], v[4:5], v[60:61]
	v_fmac_f64_e32 v[14:15], v[2:3], v[58:59]
	v_mul_f64 v[2:3], v[2:3], v[60:61]
	v_mad_u64_u32 v[18:19], s[6:7], s4, v1, v[38:39]
	v_fma_f64 v[2:3], v[58:59], v[4:5], -v[2:3]
	v_mul_f64 v[34:35], v[34:35], s[0:1]
	v_add_u32_e32 v19, s2, v19
	v_mul_f64 v[16:17], v[2:3], s[0:1]
	ds_read_b128 v[2:5], v146 offset:15360
	global_store_dwordx4 v[18:19], v[34:37], off
	v_mul_f64 v[14:15], v[14:15], s[0:1]
	s_nop 0
	v_mad_u64_u32 v[34:35], s[6:7], s4, v1, v[18:19]
	v_add_u32_e32 v35, s2, v35
	global_store_dwordx4 v[34:35], v[14:17], off
	ds_read_b128 v[14:17], v146 offset:16896
	s_waitcnt vmcnt(9) lgkmcnt(1)
	v_mul_f64 v[18:19], v[4:5], v[24:25]
	v_fmac_f64_e32 v[18:19], v[2:3], v[22:23]
	v_mul_f64 v[2:3], v[2:3], v[24:25]
	v_fma_f64 v[2:3], v[22:23], v[4:5], -v[2:3]
	v_mul_f64 v[20:21], v[2:3], s[0:1]
	v_mad_u64_u32 v[22:23], s[6:7], s4, v1, v[34:35]
	s_waitcnt vmcnt(8) lgkmcnt(0)
	v_mul_f64 v[2:3], v[16:17], v[8:9]
	v_mul_f64 v[4:5], v[14:15], v[8:9]
	v_fmac_f64_e32 v[2:3], v[14:15], v[6:7]
	v_fma_f64 v[4:5], v[6:7], v[16:17], -v[4:5]
	ds_read_b128 v[6:9], v146 offset:18432
	v_mul_f64 v[18:19], v[18:19], s[0:1]
	v_add_u32_e32 v23, s2, v23
	global_store_dwordx4 v[22:23], v[18:21], off
	v_mul_f64 v[2:3], v[2:3], s[0:1]
	v_mul_f64 v[4:5], v[4:5], s[0:1]
	v_mad_u64_u32 v[18:19], s[6:7], s4, v1, v[22:23]
	v_add_u32_e32 v19, s2, v19
	global_store_dwordx4 v[18:19], v[2:5], off
	ds_read_b128 v[2:5], v146 offset:19968
	s_waitcnt vmcnt(8) lgkmcnt(1)
	v_mul_f64 v[14:15], v[8:9], v[12:13]
	v_fmac_f64_e32 v[14:15], v[6:7], v[10:11]
	v_mul_f64 v[6:7], v[6:7], v[12:13]
	v_fma_f64 v[6:7], v[10:11], v[8:9], -v[6:7]
	v_mul_f64 v[16:17], v[6:7], s[0:1]
	v_mad_u64_u32 v[6:7], s[6:7], s4, v40, 0
	v_mov_b32_e32 v0, v7
	v_mad_u64_u32 v[8:9], s[6:7], s5, v40, v[0:1]
	v_mov_b32_e32 v7, v8
	v_mul_f64 v[14:15], v[14:15], s[0:1]
	v_lshl_add_u64 v[6:7], v[6:7], 4, v[28:29]
	global_store_dwordx4 v[6:7], v[14:17], off
	s_waitcnt vmcnt(8) lgkmcnt(0)
	v_mul_f64 v[6:7], v[4:5], v[32:33]
	v_fmac_f64_e32 v[6:7], v[2:3], v[30:31]
	v_mul_f64 v[2:3], v[2:3], v[32:33]
	v_mad_u64_u32 v[18:19], s[6:7], s4, v41, v[18:19]
	v_fma_f64 v[2:3], v[30:31], v[4:5], -v[2:3]
	v_add_u32_e32 v19, s3, v19
	s_movk_i32 s3, 0x5000
	v_mul_f64 v[6:7], v[6:7], s[0:1]
	v_mul_f64 v[8:9], v[2:3], s[0:1]
	v_add_co_u32_e32 v20, vcc, s3, v26
	global_store_dwordx4 v[18:19], v[6:9], off
	s_nop 0
	v_addc_co_u32_e32 v21, vcc, 0, v27, vcc
	global_load_dwordx4 v[2:5], v[20:21], off offset:1024
	ds_read_b128 v[6:9], v146 offset:21504
	ds_read_b128 v[10:13], v146 offset:23040
	s_waitcnt vmcnt(0) lgkmcnt(1)
	v_mul_f64 v[14:15], v[8:9], v[4:5]
	v_mul_f64 v[4:5], v[6:7], v[4:5]
	v_fmac_f64_e32 v[14:15], v[6:7], v[2:3]
	v_fma_f64 v[2:3], v[2:3], v[8:9], -v[4:5]
	v_mad_u64_u32 v[6:7], s[6:7], s4, v1, v[18:19]
	v_mul_f64 v[14:15], v[14:15], s[0:1]
	v_mul_f64 v[16:17], v[2:3], s[0:1]
	v_add_u32_e32 v7, s2, v7
	global_store_dwordx4 v[6:7], v[14:17], off
	global_load_dwordx4 v[2:5], v[20:21], off offset:2560
	v_mad_u64_u32 v[6:7], s[4:5], s4, v1, v[6:7]
	v_add_u32_e32 v7, s2, v7
	s_waitcnt vmcnt(0) lgkmcnt(0)
	v_mul_f64 v[0:1], v[12:13], v[4:5]
	v_mul_f64 v[4:5], v[10:11], v[4:5]
	v_fmac_f64_e32 v[0:1], v[10:11], v[2:3]
	v_fma_f64 v[2:3], v[2:3], v[12:13], -v[4:5]
	v_mul_f64 v[0:1], v[0:1], s[0:1]
	v_mul_f64 v[2:3], v[2:3], s[0:1]
	global_store_dwordx4 v[6:7], v[0:3], off
.LBB0_23:
	s_endpgm
	.section	.rodata,"a",@progbits
	.p2align	6, 0x0
	.amdhsa_kernel bluestein_single_back_len1536_dim1_dp_op_CI_CI
		.amdhsa_group_segment_fixed_size 24576
		.amdhsa_private_segment_fixed_size 0
		.amdhsa_kernarg_size 104
		.amdhsa_user_sgpr_count 2
		.amdhsa_user_sgpr_dispatch_ptr 0
		.amdhsa_user_sgpr_queue_ptr 0
		.amdhsa_user_sgpr_kernarg_segment_ptr 1
		.amdhsa_user_sgpr_dispatch_id 0
		.amdhsa_user_sgpr_kernarg_preload_length 0
		.amdhsa_user_sgpr_kernarg_preload_offset 0
		.amdhsa_user_sgpr_private_segment_size 0
		.amdhsa_uses_dynamic_stack 0
		.amdhsa_enable_private_segment 0
		.amdhsa_system_sgpr_workgroup_id_x 1
		.amdhsa_system_sgpr_workgroup_id_y 0
		.amdhsa_system_sgpr_workgroup_id_z 0
		.amdhsa_system_sgpr_workgroup_info 0
		.amdhsa_system_vgpr_workitem_id 0
		.amdhsa_next_free_vgpr 190
		.amdhsa_next_free_sgpr 22
		.amdhsa_accum_offset 192
		.amdhsa_reserve_vcc 1
		.amdhsa_float_round_mode_32 0
		.amdhsa_float_round_mode_16_64 0
		.amdhsa_float_denorm_mode_32 3
		.amdhsa_float_denorm_mode_16_64 3
		.amdhsa_dx10_clamp 1
		.amdhsa_ieee_mode 1
		.amdhsa_fp16_overflow 0
		.amdhsa_tg_split 0
		.amdhsa_exception_fp_ieee_invalid_op 0
		.amdhsa_exception_fp_denorm_src 0
		.amdhsa_exception_fp_ieee_div_zero 0
		.amdhsa_exception_fp_ieee_overflow 0
		.amdhsa_exception_fp_ieee_underflow 0
		.amdhsa_exception_fp_ieee_inexact 0
		.amdhsa_exception_int_div_zero 0
	.end_amdhsa_kernel
	.text
.Lfunc_end0:
	.size	bluestein_single_back_len1536_dim1_dp_op_CI_CI, .Lfunc_end0-bluestein_single_back_len1536_dim1_dp_op_CI_CI
                                        ; -- End function
	.section	.AMDGPU.csdata,"",@progbits
; Kernel info:
; codeLenInByte = 12504
; NumSgprs: 28
; NumVgprs: 190
; NumAgprs: 0
; TotalNumVgprs: 190
; ScratchSize: 0
; MemoryBound: 0
; FloatMode: 240
; IeeeMode: 1
; LDSByteSize: 24576 bytes/workgroup (compile time only)
; SGPRBlocks: 3
; VGPRBlocks: 23
; NumSGPRsForWavesPerEU: 28
; NumVGPRsForWavesPerEU: 190
; AccumOffset: 192
; Occupancy: 2
; WaveLimiterHint : 1
; COMPUTE_PGM_RSRC2:SCRATCH_EN: 0
; COMPUTE_PGM_RSRC2:USER_SGPR: 2
; COMPUTE_PGM_RSRC2:TRAP_HANDLER: 0
; COMPUTE_PGM_RSRC2:TGID_X_EN: 1
; COMPUTE_PGM_RSRC2:TGID_Y_EN: 0
; COMPUTE_PGM_RSRC2:TGID_Z_EN: 0
; COMPUTE_PGM_RSRC2:TIDIG_COMP_CNT: 0
; COMPUTE_PGM_RSRC3_GFX90A:ACCUM_OFFSET: 47
; COMPUTE_PGM_RSRC3_GFX90A:TG_SPLIT: 0
	.text
	.p2alignl 6, 3212836864
	.fill 256, 4, 3212836864
	.type	__hip_cuid_1dd55febb02c5d41,@object ; @__hip_cuid_1dd55febb02c5d41
	.section	.bss,"aw",@nobits
	.globl	__hip_cuid_1dd55febb02c5d41
__hip_cuid_1dd55febb02c5d41:
	.byte	0                               ; 0x0
	.size	__hip_cuid_1dd55febb02c5d41, 1

	.ident	"AMD clang version 19.0.0git (https://github.com/RadeonOpenCompute/llvm-project roc-6.4.0 25133 c7fe45cf4b819c5991fe208aaa96edf142730f1d)"
	.section	".note.GNU-stack","",@progbits
	.addrsig
	.addrsig_sym __hip_cuid_1dd55febb02c5d41
	.amdgpu_metadata
---
amdhsa.kernels:
  - .agpr_count:     0
    .args:
      - .actual_access:  read_only
        .address_space:  global
        .offset:         0
        .size:           8
        .value_kind:     global_buffer
      - .actual_access:  read_only
        .address_space:  global
        .offset:         8
        .size:           8
        .value_kind:     global_buffer
      - .actual_access:  read_only
        .address_space:  global
        .offset:         16
        .size:           8
        .value_kind:     global_buffer
      - .actual_access:  read_only
        .address_space:  global
        .offset:         24
        .size:           8
        .value_kind:     global_buffer
      - .actual_access:  read_only
        .address_space:  global
        .offset:         32
        .size:           8
        .value_kind:     global_buffer
      - .offset:         40
        .size:           8
        .value_kind:     by_value
      - .address_space:  global
        .offset:         48
        .size:           8
        .value_kind:     global_buffer
      - .address_space:  global
        .offset:         56
        .size:           8
        .value_kind:     global_buffer
      - .address_space:  global
        .offset:         64
        .size:           8
        .value_kind:     global_buffer
      - .address_space:  global
        .offset:         72
        .size:           8
        .value_kind:     global_buffer
      - .offset:         80
        .size:           4
        .value_kind:     by_value
      - .address_space:  global
        .offset:         88
        .size:           8
        .value_kind:     global_buffer
      - .address_space:  global
        .offset:         96
        .size:           8
        .value_kind:     global_buffer
    .group_segment_fixed_size: 24576
    .kernarg_segment_align: 8
    .kernarg_segment_size: 104
    .language:       OpenCL C
    .language_version:
      - 2
      - 0
    .max_flat_workgroup_size: 256
    .name:           bluestein_single_back_len1536_dim1_dp_op_CI_CI
    .private_segment_fixed_size: 0
    .sgpr_count:     28
    .sgpr_spill_count: 0
    .symbol:         bluestein_single_back_len1536_dim1_dp_op_CI_CI.kd
    .uniform_work_group_size: 1
    .uses_dynamic_stack: false
    .vgpr_count:     190
    .vgpr_spill_count: 0
    .wavefront_size: 64
amdhsa.target:   amdgcn-amd-amdhsa--gfx950
amdhsa.version:
  - 1
  - 2
...

	.end_amdgpu_metadata
